;; amdgpu-corpus repo=ROCm/rocFFT kind=compiled arch=gfx1030 opt=O3
	.text
	.amdgcn_target "amdgcn-amd-amdhsa--gfx1030"
	.amdhsa_code_object_version 6
	.protected	bluestein_single_back_len1701_dim1_dp_op_CI_CI ; -- Begin function bluestein_single_back_len1701_dim1_dp_op_CI_CI
	.globl	bluestein_single_back_len1701_dim1_dp_op_CI_CI
	.p2align	8
	.type	bluestein_single_back_len1701_dim1_dp_op_CI_CI,@function
bluestein_single_back_len1701_dim1_dp_op_CI_CI: ; @bluestein_single_back_len1701_dim1_dp_op_CI_CI
; %bb.0:
	s_load_dwordx4 s[8:11], s[4:5], 0x28
	v_mul_u32_u24_e32 v1, 0x411, v0
	s_mov_b64 s[30:31], s[2:3]
	s_mov_b64 s[28:29], s[0:1]
	v_mov_b32_e32 v9, 0
	s_add_u32 s28, s28, s7
	v_lshrrev_b32_e32 v1, 16, v1
	s_addc_u32 s29, s29, 0
	s_mov_b32 s0, exec_lo
	v_add_nc_u32_e32 v8, s6, v1
	s_waitcnt lgkmcnt(0)
	v_cmpx_gt_u64_e64 s[8:9], v[8:9]
	s_cbranch_execz .LBB0_10
; %bb.1:
	s_clause 0x1
	s_load_dwordx4 s[0:3], s[4:5], 0x18
	s_load_dwordx4 s[12:15], s[4:5], 0x0
	v_mul_lo_u16 v1, v1, 63
	v_mov_b32_e32 v19, v8
	v_sub_nc_u16 v240, v0, v1
	v_mov_b32_e32 v18, v19
	v_and_b32_e32 v247, 0xffff, v240
	v_lshlrev_b32_e32 v138, 4, v247
	s_waitcnt lgkmcnt(0)
	s_load_dwordx4 s[16:19], s[0:1], 0x0
	s_clause 0x2
	global_load_dwordx4 v[139:142], v138, s[12:13]
	global_load_dwordx4 v[132:135], v138, s[12:13] offset:1008
	global_load_dwordx4 v[128:131], v138, s[12:13] offset:2016
	v_add_co_u32 v2, s0, s12, v138
	v_add_co_ci_u32_e64 v3, null, s13, 0, s0
	v_add_co_u32 v4, vcc_lo, 0x2000, v2
	v_add_co_ci_u32_e32 v5, vcc_lo, 0, v3, vcc_lo
	v_add_co_u32 v0, vcc_lo, 0x4000, v2
	v_add_co_ci_u32_e32 v1, vcc_lo, 0, v3, vcc_lo
	v_add_co_u32 v6, vcc_lo, 0x4800, v2
	v_add_co_ci_u32_e32 v7, vcc_lo, 0, v3, vcc_lo
	s_waitcnt lgkmcnt(0)
	v_mad_u64_u32 v[8:9], null, s18, v19, 0
	buffer_store_dword v18, off, s[28:31], 0 offset:20 ; 4-byte Folded Spill
	buffer_store_dword v19, off, s[28:31], 0 offset:24 ; 4-byte Folded Spill
	v_mad_u64_u32 v[10:11], null, s16, v247, 0
	v_add_co_u32 v12, vcc_lo, 0x2800, v2
	v_add_co_ci_u32_e32 v13, vcc_lo, 0, v3, vcc_lo
	v_add_co_u32 v14, vcc_lo, 0x800, v2
	v_add_co_ci_u32_e32 v15, vcc_lo, 0, v3, vcc_lo
	v_add_co_u32 v16, vcc_lo, 0x5000, v2
	s_clause 0x2
	global_load_dwordx4 v[147:150], v[0:1], off offset:1760
	global_load_dwordx4 v[183:186], v[4:5], off offset:880
	;; [unrolled: 1-line block ×3, first 2 shown]
	v_add_co_ci_u32_e32 v17, vcc_lo, 0, v3, vcc_lo
	s_mul_i32 s1, s17, 0x2370
	s_mul_hi_u32 s7, s16, 0x2370
	s_mul_i32 s0, s16, 0x2370
	s_add_i32 s1, s7, s1
	s_clause 0x5
	global_load_dwordx4 v[171:174], v[6:7], off offset:720
	global_load_dwordx4 v[155:158], v[6:7], off offset:1728
	;; [unrolled: 1-line block ×6, first 2 shown]
	s_mul_hi_u32 s9, s16, 0xffffbd10
	s_mul_i32 s8, s17, 0xffffbd10
	s_mul_i32 s6, s16, 0xffffbd10
	s_sub_i32 s7, s9, s16
	s_add_i32 s7, s7, s8
	v_mad_u64_u32 v[18:19], null, s19, v19, v[9:10]
	v_mad_u64_u32 v[19:20], null, s17, v247, v[11:12]
	v_add_co_u32 v20, vcc_lo, 0x3000, v2
	v_add_co_ci_u32_e32 v21, vcc_lo, 0, v3, vcc_lo
	v_mov_b32_e32 v9, v18
	v_mov_b32_e32 v11, v19
	v_lshlrev_b64 v[4:5], 4, v[8:9]
	v_lshlrev_b64 v[8:9], 4, v[10:11]
	v_add_co_u32 v4, vcc_lo, s10, v4
	v_add_co_ci_u32_e32 v5, vcc_lo, s11, v5, vcc_lo
	v_add_co_u32 v4, vcc_lo, v4, v8
	v_add_co_ci_u32_e32 v5, vcc_lo, v5, v9, vcc_lo
	v_add_co_u32 v8, vcc_lo, v4, s0
	v_add_co_ci_u32_e32 v9, vcc_lo, s1, v5, vcc_lo
	s_clause 0x1
	global_load_dwordx4 v[68:71], v[4:5], off
	global_load_dwordx4 v[72:75], v[8:9], off
	v_add_co_u32 v10, vcc_lo, v8, s0
	v_add_co_ci_u32_e32 v11, vcc_lo, s1, v9, vcc_lo
	v_add_co_u32 v18, vcc_lo, v10, s6
	v_add_co_ci_u32_e32 v19, vcc_lo, s7, v11, vcc_lo
	global_load_dwordx4 v[84:87], v[10:11], off
	v_add_co_u32 v6, vcc_lo, v18, s0
	v_add_co_ci_u32_e32 v7, vcc_lo, s1, v19, vcc_lo
	s_clause 0x1
	global_load_dwordx4 v[92:95], v[18:19], off
	global_load_dwordx4 v[76:79], v[6:7], off
	v_add_co_u32 v12, vcc_lo, v6, s0
	v_add_co_ci_u32_e32 v13, vcc_lo, s1, v7, vcc_lo
	v_add_co_u32 v14, vcc_lo, v12, s6
	v_add_co_ci_u32_e32 v15, vcc_lo, s7, v13, vcc_lo
	global_load_dwordx4 v[80:83], v[12:13], off
	v_add_co_u32 v4, vcc_lo, v14, s0
	v_add_co_ci_u32_e32 v5, vcc_lo, s1, v15, vcc_lo
	global_load_dwordx4 v[60:63], v[14:15], off
	;; [unrolled: 3-line block ×5, first 2 shown]
	v_add_co_u32 v12, vcc_lo, v10, s0
	v_add_co_ci_u32_e32 v13, vcc_lo, s1, v11, vcc_lo
	v_add_co_u32 v4, vcc_lo, v12, s6
	v_add_co_ci_u32_e32 v5, vcc_lo, s7, v13, vcc_lo
	;; [unrolled: 2-line block ×4, first 2 shown]
	global_load_dwordx4 v[104:107], v[10:11], off
	global_load_dwordx4 v[100:103], v[12:13], off
	;; [unrolled: 1-line block ×5, first 2 shown]
	v_add_co_u32 v4, vcc_lo, v6, s6
	v_add_co_ci_u32_e32 v5, vcc_lo, s7, v7, vcc_lo
	s_clause 0x1
	global_load_dwordx4 v[235:238], v[16:17], off offset:688
	global_load_dwordx4 v[215:218], v[16:17], off offset:1696
	v_add_co_u32 v6, vcc_lo, v4, s0
	v_add_co_ci_u32_e32 v7, vcc_lo, s1, v5, vcc_lo
	global_load_dwordx4 v[96:99], v[4:5], off
	v_add_co_u32 v4, vcc_lo, v6, s0
	v_add_co_ci_u32_e32 v5, vcc_lo, s1, v7, vcc_lo
	v_add_co_u32 v8, vcc_lo, 0x1000, v2
	v_add_co_ci_u32_e32 v9, vcc_lo, 0, v3, vcc_lo
	global_load_dwordx4 v[40:43], v[6:7], off
	s_clause 0x1
	global_load_dwordx4 v[231:234], v[20:21], off offset:816
	global_load_dwordx4 v[223:226], v[20:21], off offset:1824
	global_load_dwordx4 v[36:39], v[4:5], off
	v_add_co_u32 v4, vcc_lo, v4, s6
	v_add_co_ci_u32_e32 v5, vcc_lo, s7, v5, vcc_lo
	v_add_co_u32 v6, vcc_lo, 0x5800, v2
	v_add_co_ci_u32_e32 v7, vcc_lo, 0, v3, vcc_lo
	global_load_dwordx4 v[32:35], v[4:5], off
	v_add_co_u32 v4, vcc_lo, v4, s0
	v_add_co_ci_u32_e32 v5, vcc_lo, s1, v5, vcc_lo
	s_clause 0x1
	global_load_dwordx4 v[227:230], v[8:9], off offset:944
	global_load_dwordx4 v[211:214], v[8:9], off offset:1952
	v_add_co_u32 v8, vcc_lo, v4, s0
	v_add_co_ci_u32_e32 v9, vcc_lo, s1, v5, vcc_lo
	global_load_dwordx4 v[28:31], v[4:5], off
	v_add_co_u32 v4, vcc_lo, v8, s6
	v_add_co_ci_u32_e32 v5, vcc_lo, s7, v9, vcc_lo
	v_add_co_u32 v10, vcc_lo, 0x3800, v2
	v_add_co_ci_u32_e32 v11, vcc_lo, 0, v3, vcc_lo
	global_load_dwordx4 v[24:27], v[8:9], off
	s_clause 0x1
	global_load_dwordx4 v[219:222], v[6:7], off offset:656
	global_load_dwordx4 v[203:206], v[6:7], off offset:1664
	global_load_dwordx4 v[16:19], v[4:5], off
	v_add_co_u32 v4, vcc_lo, v4, s0
	v_add_co_ci_u32_e32 v5, vcc_lo, s1, v5, vcc_lo
	v_add_co_u32 v6, vcc_lo, 0x1800, v2
	v_add_co_ci_u32_e32 v7, vcc_lo, 0, v3, vcc_lo
	;; [unrolled: 2-line block ×4, first 2 shown]
	global_load_dwordx4 v[179:182], v[6:7], off offset:912
	global_load_dwordx4 v[20:23], v[4:5], off
	s_clause 0x1
	global_load_dwordx4 v[207:210], v[10:11], off offset:784
	global_load_dwordx4 v[175:178], v[10:11], off offset:1792
	global_load_dwordx4 v[8:11], v[12:13], off
	v_add_co_u32 v4, vcc_lo, v12, s6
	v_add_co_ci_u32_e32 v5, vcc_lo, s7, v13, vcc_lo
	global_load_dwordx4 v[187:190], v[2:3], off offset:624
	v_add_co_u32 v108, vcc_lo, v4, s0
	v_add_co_ci_u32_e32 v109, vcc_lo, s1, v5, vcc_lo
	global_load_dwordx4 v[12:15], v[4:5], off
	v_add_co_u32 v110, vcc_lo, v108, s0
	v_add_co_ci_u32_e32 v111, vcc_lo, s1, v109, vcc_lo
	global_load_dwordx4 v[195:198], v[6:7], off offset:1920
	global_load_dwordx4 v[4:7], v[108:109], off
	s_clause 0x1
	global_load_dwordx4 v[199:202], v[0:1], off offset:752
	global_load_dwordx4 v[191:194], v[2:3], off offset:1632
	global_load_dwordx4 v[0:3], v[110:111], off
	s_mov_b32 s0, 0xe8584caa
	s_mov_b32 s1, 0x3febb67a
	v_cmp_gt_u16_e32 vcc_lo, 18, v240
	s_waitcnt vmcnt(41)
	v_mul_f64 v[108:109], v[70:71], v[141:142]
	s_waitcnt vmcnt(40)
	v_mul_f64 v[112:113], v[74:75], v[185:186]
	v_mul_f64 v[110:111], v[68:69], v[141:142]
	;; [unrolled: 1-line block ×3, first 2 shown]
	s_waitcnt vmcnt(39)
	v_mul_f64 v[116:117], v[86:87], v[149:150]
	v_mul_f64 v[118:119], v[84:85], v[149:150]
	s_waitcnt vmcnt(38)
	v_mul_f64 v[120:121], v[94:95], v[134:135]
	s_waitcnt vmcnt(37)
	v_mul_f64 v[124:125], v[78:79], v[165:166]
	v_mul_f64 v[122:123], v[92:93], v[134:135]
	;; [unrolled: 1-line block ×3, first 2 shown]
	v_fma_f64 v[68:69], v[68:69], v[139:140], v[108:109]
	buffer_store_dword v139, off, s[28:31], 0 offset:60 ; 4-byte Folded Spill
	buffer_store_dword v140, off, s[28:31], 0 offset:64 ; 4-byte Folded Spill
	;; [unrolled: 1-line block ×4, first 2 shown]
	v_fma_f64 v[72:73], v[72:73], v[183:184], v[112:113]
	buffer_store_dword v183, off, s[28:31], 0 offset:236 ; 4-byte Folded Spill
	buffer_store_dword v184, off, s[28:31], 0 offset:240 ; 4-byte Folded Spill
	;; [unrolled: 1-line block ×4, first 2 shown]
	s_waitcnt vmcnt(36)
	v_mul_f64 v[108:109], v[82:83], v[173:174]
	v_fma_f64 v[84:85], v[84:85], v[147:148], v[116:117]
	buffer_store_dword v147, off, s[28:31], 0 offset:92 ; 4-byte Folded Spill
	buffer_store_dword v148, off, s[28:31], 0 offset:96 ; 4-byte Folded Spill
	;; [unrolled: 1-line block ×4, first 2 shown]
	s_load_dwordx4 s[8:11], s[2:3], 0x0
	s_waitcnt vmcnt(35)
	v_mul_f64 v[112:113], v[62:63], v[130:131]
	s_mov_b32 s3, 0xbfebb67a
	s_waitcnt vmcnt(34)
	v_mul_f64 v[116:117], v[66:67], v[169:170]
	v_fma_f64 v[92:93], v[92:93], v[132:133], v[120:121]
	buffer_store_dword v132, off, s[28:31], 0 offset:44 ; 4-byte Folded Spill
	buffer_store_dword v133, off, s[28:31], 0 offset:48 ; 4-byte Folded Spill
	buffer_store_dword v134, off, s[28:31], 0 offset:52 ; 4-byte Folded Spill
	buffer_store_dword v135, off, s[28:31], 0 offset:56 ; 4-byte Folded Spill
	v_fma_f64 v[76:77], v[76:77], v[163:164], v[124:125]
	buffer_store_dword v163, off, s[28:31], 0 offset:156 ; 4-byte Folded Spill
	buffer_store_dword v164, off, s[28:31], 0 offset:160 ; 4-byte Folded Spill
	;; [unrolled: 1-line block ×4, first 2 shown]
	s_waitcnt vmcnt(33)
	v_mul_f64 v[120:121], v[50:51], v[157:158]
	s_mov_b32 s2, s0
	s_waitcnt vmcnt(32)
	v_mul_f64 v[124:125], v[54:55], v[161:162]
	v_fma_f64 v[70:71], v[70:71], v[139:140], -v[110:111]
	v_mul_f64 v[110:111], v[80:81], v[173:174]
	v_fma_f64 v[74:75], v[74:75], v[183:184], -v[114:115]
	v_mul_f64 v[114:115], v[60:61], v[130:131]
	v_fma_f64 v[60:61], v[60:61], v[128:129], v[112:113]
	s_waitcnt vmcnt(18)
	v_mul_f64 v[112:113], v[98:99], v[229:230]
	v_fma_f64 v[86:87], v[86:87], v[147:148], -v[118:119]
	v_mul_f64 v[118:119], v[64:65], v[169:170]
	v_fma_f64 v[64:65], v[64:65], v[167:168], v[116:117]
	s_waitcnt vmcnt(6)
	v_mul_f64 v[116:117], v[10:11], v[189:190]
	v_fma_f64 v[94:95], v[94:95], v[132:133], -v[122:123]
	v_mul_f64 v[122:123], v[48:49], v[157:158]
	v_fma_f64 v[78:79], v[78:79], v[163:164], -v[126:127]
	v_mul_f64 v[126:127], v[52:53], v[161:162]
	v_fma_f64 v[48:49], v[48:49], v[155:156], v[120:121]
	ds_write_b128 v138, v[68:71]
	v_fma_f64 v[68:69], v[80:81], v[171:172], v[108:109]
	buffer_store_dword v171, off, s[28:31], 0 offset:188 ; 4-byte Folded Spill
	buffer_store_dword v172, off, s[28:31], 0 offset:192 ; 4-byte Folded Spill
	;; [unrolled: 1-line block ×4, first 2 shown]
	ds_write_b128 v138, v[72:75] offset:9072
	buffer_store_dword v128, off, s[28:31], 0 offset:28 ; 4-byte Folded Spill
	buffer_store_dword v129, off, s[28:31], 0 offset:32 ; 4-byte Folded Spill
	;; [unrolled: 1-line block ×4, first 2 shown]
	v_mul_f64 v[72:73], v[106:107], v[153:154]
	v_mul_f64 v[80:81], v[102:103], v[237:238]
	;; [unrolled: 1-line block ×4, first 2 shown]
	v_fma_f64 v[52:53], v[52:53], v[159:160], v[124:125]
	s_waitcnt vmcnt(4)
	v_mul_f64 v[120:121], v[14:15], v[197:198]
	ds_write_b128 v138, v[84:87] offset:18144
	v_mul_f64 v[84:85], v[90:91], v[145:146]
	buffer_store_dword v167, off, s[28:31], 0 offset:172 ; 4-byte Folded Spill
	buffer_store_dword v168, off, s[28:31], 0 offset:176 ; 4-byte Folded Spill
	;; [unrolled: 1-line block ×4, first 2 shown]
	v_mul_f64 v[86:87], v[88:89], v[145:146]
	s_waitcnt vmcnt(2)
	v_mul_f64 v[124:125], v[6:7], v[201:202]
	s_waitcnt vmcnt(0)
	v_mul_f64 v[130:131], v[0:1], v[193:194]
	ds_write_b128 v138, v[92:95] offset:1008
	v_mul_f64 v[92:93], v[46:47], v[217:218]
	buffer_store_dword v155, off, s[28:31], 0 offset:124 ; 4-byte Folded Spill
	buffer_store_dword v156, off, s[28:31], 0 offset:128 ; 4-byte Folded Spill
	;; [unrolled: 1-line block ×4, first 2 shown]
	ds_write_b128 v138, v[76:79] offset:10080
	buffer_store_dword v159, off, s[28:31], 0 offset:140 ; 4-byte Folded Spill
	buffer_store_dword v160, off, s[28:31], 0 offset:144 ; 4-byte Folded Spill
	;; [unrolled: 1-line block ×4, first 2 shown]
	v_mul_f64 v[94:95], v[44:45], v[217:218]
	v_fma_f64 v[72:73], v[104:105], v[151:152], v[72:73]
	buffer_store_dword v151, off, s[28:31], 0 offset:108 ; 4-byte Folded Spill
	buffer_store_dword v152, off, s[28:31], 0 offset:112 ; 4-byte Folded Spill
	;; [unrolled: 1-line block ×4, first 2 shown]
	v_fma_f64 v[76:77], v[100:101], v[235:236], v[80:81]
	v_mul_f64 v[104:105], v[34:35], v[213:214]
	v_fma_f64 v[80:81], v[88:89], v[143:144], v[84:85]
	v_fma_f64 v[84:85], v[96:97], v[227:228], v[112:113]
	v_mul_f64 v[88:89], v[38:39], v[221:222]
	v_mul_f64 v[112:113], v[22:23], v[177:178]
	v_fma_f64 v[44:45], v[44:45], v[215:216], v[92:93]
	v_mul_f64 v[92:93], v[30:31], v[209:210]
	v_fma_f64 v[70:71], v[82:83], v[171:172], -v[110:111]
	v_mul_f64 v[82:83], v[100:101], v[237:238]
	buffer_store_dword v235, off, s[28:31], 0 offset:444 ; 4-byte Folded Spill
	buffer_store_dword v236, off, s[28:31], 0 offset:448 ; 4-byte Folded Spill
	;; [unrolled: 1-line block ×8, first 2 shown]
	v_mul_f64 v[110:111], v[56:57], v[233:234]
	v_fma_f64 v[56:57], v[56:57], v[231:232], v[108:109]
	buffer_store_dword v231, off, s[28:31], 0 offset:428 ; 4-byte Folded Spill
	buffer_store_dword v232, off, s[28:31], 0 offset:432 ; 4-byte Folded Spill
	;; [unrolled: 1-line block ×8, first 2 shown]
	v_fma_f64 v[62:63], v[62:63], v[128:129], -v[114:115]
	v_mul_f64 v[114:115], v[96:97], v[229:230]
	buffer_store_dword v227, off, s[28:31], 0 offset:412 ; 4-byte Folded Spill
	buffer_store_dword v228, off, s[28:31], 0 offset:416 ; 4-byte Folded Spill
	;; [unrolled: 1-line block ×4, first 2 shown]
	v_mul_f64 v[100:101], v[42:43], v[225:226]
	v_mul_f64 v[96:97], v[26:27], v[205:206]
	;; [unrolled: 1-line block ×4, first 2 shown]
	v_fma_f64 v[66:67], v[66:67], v[167:168], -v[118:119]
	v_mul_f64 v[118:119], v[8:9], v[189:190]
	v_fma_f64 v[8:9], v[8:9], v[187:188], v[116:117]
	v_fma_f64 v[50:51], v[50:51], v[155:156], -v[122:123]
	v_mul_f64 v[122:123], v[12:13], v[197:198]
	v_fma_f64 v[12:13], v[12:13], v[195:196], v[120:121]
	;; [unrolled: 3-line block ×4, first 2 shown]
	v_fma_f64 v[0:1], v[0:1], v[191:192], v[128:129]
	v_fma_f64 v[78:79], v[102:103], v[235:236], -v[82:83]
	v_mul_f64 v[102:103], v[40:41], v[225:226]
	v_fma_f64 v[40:41], v[40:41], v[223:224], v[100:101]
	buffer_store_dword v223, off, s[28:31], 0 offset:396 ; 4-byte Folded Spill
	buffer_store_dword v224, off, s[28:31], 0 offset:400 ; 4-byte Folded Spill
	;; [unrolled: 1-line block ×4, first 2 shown]
	v_fma_f64 v[82:83], v[90:91], v[143:144], -v[86:87]
	v_mul_f64 v[90:91], v[36:37], v[221:222]
	v_fma_f64 v[36:37], v[36:37], v[219:220], v[88:89]
	buffer_store_dword v219, off, s[28:31], 0 offset:380 ; 4-byte Folded Spill
	buffer_store_dword v220, off, s[28:31], 0 offset:384 ; 4-byte Folded Spill
	;; [unrolled: 1-line block ×8, first 2 shown]
	v_fma_f64 v[46:47], v[46:47], v[215:216], -v[94:95]
	v_mul_f64 v[94:95], v[28:29], v[209:210]
	v_fma_f64 v[28:29], v[28:29], v[207:208], v[92:93]
	buffer_store_dword v207, off, s[28:31], 0 offset:332 ; 4-byte Folded Spill
	buffer_store_dword v208, off, s[28:31], 0 offset:336 ; 4-byte Folded Spill
	buffer_store_dword v209, off, s[28:31], 0 offset:340 ; 4-byte Folded Spill
	buffer_store_dword v210, off, s[28:31], 0 offset:344 ; 4-byte Folded Spill
	v_fma_f64 v[86:87], v[98:99], v[227:228], -v[114:115]
	v_mul_f64 v[98:99], v[24:25], v[205:206]
	v_fma_f64 v[24:25], v[24:25], v[203:204], v[96:97]
	buffer_store_dword v203, off, s[28:31], 0 offset:316 ; 4-byte Folded Spill
	buffer_store_dword v204, off, s[28:31], 0 offset:320 ; 4-byte Folded Spill
	buffer_store_dword v205, off, s[28:31], 0 offset:324 ; 4-byte Folded Spill
	buffer_store_dword v206, off, s[28:31], 0 offset:328 ; 4-byte Folded Spill
	;; [unrolled: 7-line block ×3, first 2 shown]
	v_mul_f64 v[114:115], v[20:21], v[177:178]
	v_fma_f64 v[20:21], v[20:21], v[175:176], v[112:113]
	buffer_store_dword v175, off, s[28:31], 0 offset:204 ; 4-byte Folded Spill
	buffer_store_dword v176, off, s[28:31], 0 offset:208 ; 4-byte Folded Spill
	;; [unrolled: 1-line block ×20, first 2 shown]
	v_and_b32_e32 v236, 0xff, v240
	v_fma_f64 v[42:43], v[42:43], v[223:224], -v[102:103]
	v_fma_f64 v[38:39], v[38:39], v[219:220], -v[90:91]
	;; [unrolled: 1-line block ×11, first 2 shown]
	ds_write_b128 v138, v[68:71] offset:19152
	ds_write_b128 v138, v[60:63] offset:2016
	;; [unrolled: 1-line block ×22, first 2 shown]
	s_waitcnt lgkmcnt(0)
	s_waitcnt_vscnt null, 0x0
	s_barrier
	buffer_gl0_inv
	ds_read_b128 v[28:31], v138 offset:9072
	ds_read_b128 v[68:71], v138
	ds_read_b128 v[64:67], v138 offset:1008
	ds_read_b128 v[32:35], v138 offset:18144
	;; [unrolled: 1-line block ×24, first 2 shown]
	s_waitcnt lgkmcnt(24)
	v_add_f64 v[106:107], v[68:69], v[28:29]
	v_add_f64 v[116:117], v[70:71], v[30:31]
	s_waitcnt lgkmcnt(20)
	v_add_f64 v[118:119], v[64:65], v[94:95]
	s_waitcnt lgkmcnt(18)
	v_add_f64 v[122:123], v[24:25], v[98:99]
	v_add_f64 v[120:121], v[66:67], v[96:97]
	s_waitcnt lgkmcnt(14)
	v_add_f64 v[128:129], v[20:21], v[112:113]
	;; [unrolled: 3-line block ×3, first 2 shown]
	v_add_f64 v[143:144], v[28:29], v[32:33]
	v_add_f64 v[88:89], v[30:31], -v[34:35]
	v_add_f64 v[145:146], v[30:31], v[34:35]
	s_waitcnt lgkmcnt(8)
	v_add_f64 v[139:140], v[14:15], v[82:83]
	v_add_f64 v[90:91], v[28:29], -v[32:33]
	v_add_f64 v[124:125], v[26:27], v[100:101]
	v_add_f64 v[147:148], v[94:95], v[36:37]
	v_add_f64 v[94:95], v[94:95], -v[36:37]
	v_add_f64 v[136:137], v[18:19], v[46:47]
	v_add_f64 v[108:109], v[98:99], v[102:103]
	v_add_f64 v[98:99], v[98:99], -v[102:103]
	v_add_f64 v[92:93], v[96:97], -v[38:39]
	v_add_f64 v[149:150], v[96:97], v[38:39]
	v_add_f64 v[96:97], v[100:101], -v[104:105]
	v_add_f64 v[28:29], v[106:107], v[32:33]
	v_add_f64 v[30:31], v[116:117], v[34:35]
	;; [unrolled: 1-line block ×5, first 2 shown]
	s_waitcnt lgkmcnt(6)
	v_add_f64 v[122:123], v[10:11], v[54:55]
	v_add_f64 v[34:35], v[120:121], v[38:39]
	;; [unrolled: 1-line block ×4, first 2 shown]
	v_add_f64 v[102:103], v[112:113], -v[40:41]
	s_waitcnt lgkmcnt(1)
	v_add_f64 v[112:113], v[6:7], v[74:75]
	v_add_f64 v[110:111], v[100:101], v[104:105]
	v_add_f64 v[100:101], v[114:115], -v[42:43]
	v_add_f64 v[126:127], v[114:115], v[42:43]
	v_add_f64 v[40:41], v[128:129], v[40:41]
	;; [unrolled: 1-line block ×4, first 2 shown]
	v_add_f64 v[106:107], v[44:45], -v[84:85]
	v_add_f64 v[44:45], v[132:133], v[84:85]
	v_add_f64 v[84:85], v[82:83], -v[50:51]
	v_add_f64 v[130:131], v[82:83], v[50:51]
	v_add_f64 v[50:51], v[139:140], v[50:51]
	ds_read_b128 v[139:142], v138 offset:26208
	v_add_f64 v[38:39], v[124:125], v[104:105]
	v_add_f64 v[104:105], v[46:47], -v[86:87]
	v_add_f64 v[134:135], v[46:47], v[86:87]
	v_add_f64 v[46:47], v[136:137], v[86:87]
	;; [unrolled: 1-line block ×3, first 2 shown]
	v_add_f64 v[80:81], v[80:81], -v[48:49]
	v_add_f64 v[48:49], v[116:117], v[48:49]
	v_add_f64 v[82:83], v[54:55], -v[78:79]
	v_add_f64 v[136:137], v[54:55], v[78:79]
	v_add_f64 v[54:55], v[122:123], v[78:79]
	;; [unrolled: 1-line block ×3, first 2 shown]
	s_waitcnt lgkmcnt(1)
	v_add_f64 v[116:117], v[0:1], v[60:61]
	v_add_f64 v[132:133], v[52:53], v[76:77]
	v_add_f64 v[86:87], v[52:53], -v[76:77]
	v_add_f64 v[52:53], v[120:121], v[76:77]
	v_add_f64 v[120:121], v[72:73], v[56:57]
	v_add_f64 v[76:77], v[74:75], -v[58:59]
	v_add_f64 v[122:123], v[74:75], v[58:59]
	v_add_f64 v[58:59], v[112:113], v[58:59]
	;; [unrolled: 1-line block ×3, first 2 shown]
	s_waitcnt lgkmcnt(0)
	v_add_f64 v[112:113], v[60:61], v[139:140]
	v_add_f64 v[114:115], v[62:63], v[141:142]
	v_add_f64 v[72:73], v[72:73], -v[56:57]
	v_add_f64 v[74:75], v[62:63], -v[141:142]
	v_fma_f64 v[70:71], v[145:146], -0.5, v[70:71]
	v_fma_f64 v[108:109], v[108:109], -0.5, v[24:25]
	v_fma_f64 v[110:111], v[110:111], -0.5, v[26:27]
	v_fma_f64 v[118:119], v[118:119], -0.5, v[20:21]
	v_fma_f64 v[126:127], v[126:127], -0.5, v[22:23]
	v_fma_f64 v[128:129], v[128:129], -0.5, v[16:17]
	v_fma_f64 v[134:135], v[134:135], -0.5, v[18:19]
	v_fma_f64 v[124:125], v[124:125], -0.5, v[12:13]
	v_add_f64 v[56:57], v[78:79], v[56:57]
	v_add_f64 v[78:79], v[60:61], -v[139:140]
	v_add_f64 v[60:61], v[116:117], v[139:140]
	v_fma_f64 v[116:117], v[143:144], -0.5, v[68:69]
	v_fma_f64 v[68:69], v[147:148], -0.5, v[64:65]
	;; [unrolled: 1-line block ×3, first 2 shown]
	v_mov_b32_e32 v66, 4
	v_mul_lo_u16 v140, v240, 3
	v_fma_f64 v[130:131], v[130:131], -0.5, v[14:15]
	v_add_f64 v[62:63], v[151:152], v[141:142]
	v_fma_f64 v[132:133], v[132:133], -0.5, v[8:9]
	v_fma_f64 v[142:143], v[120:121], -0.5, v[4:5]
	v_lshlrev_b32_sdwa v144, v66, v140 dst_sel:DWORD dst_unused:UNUSED_PAD src0_sel:DWORD src1_sel:WORD_0
	v_fma_f64 v[140:141], v[136:137], -0.5, v[10:11]
	v_fma_f64 v[6:7], v[122:123], -0.5, v[6:7]
	;; [unrolled: 1-line block ×4, first 2 shown]
	v_mul_lo_u16 v17, 0xab, v236
	v_add_co_u32 v27, s6, v247, 63
	v_add_co_u32 v26, null, 0x7e, v247
	v_add_co_u32 v139, null, 0xbd, v247
	;; [unrolled: 1-line block ×5, first 2 shown]
	v_lshrrev_b16 v10, 9, v17
	v_mul_u32_u24_e32 v18, 3, v27
	v_mul_u32_u24_e32 v19, 3, v26
	;; [unrolled: 1-line block ×6, first 2 shown]
	v_mul_lo_u16 v11, v10, 3
	v_and_b32_e32 v9, 0xff, v27
	v_lshlrev_b32_e32 v150, 4, v18
	v_lshlrev_b32_e32 v149, 4, v19
	;; [unrolled: 1-line block ×6, first 2 shown]
	v_sub_nc_u16 v15, v240, v11
	v_fma_f64 v[11:12], v[88:89], s[0:1], v[116:117]
	v_fma_f64 v[17:18], v[88:89], s[2:3], v[116:117]
	;; [unrolled: 1-line block ×36, first 2 shown]
	v_mul_lo_u16 v5, 0xab, v9
	v_add_co_u32 v22, null, 0x1b9, v247
	v_add_co_u32 v16, null, 0x1f8, v247
	v_lshrrev_b16 v5, 9, v5
	v_mul_u32_u24_e32 v21, 3, v22
	v_and_b32_e32 v8, 0xff, v26
	v_mul_u32_u24_e32 v136, 3, v16
	v_and_b32_e32 v7, 0xff, v15
	v_mul_lo_u16 v137, v5, 3
	v_and_b32_e32 v4, 0xff, v139
	v_mul_lo_u16 v0, 0xab, v8
	v_lshlrev_b32_e32 v6, 4, v21
	v_lshlrev_b32_e32 v3, 4, v136
	v_sub_nc_u16 v1, v27, v137
	v_lshlrev_b32_e32 v2, 5, v7
	v_lshrrev_b16 v0, 9, v0
	s_barrier
	v_and_b32_e32 v1, 0xff, v1
	buffer_gl0_inv
	ds_write_b128 v144, v[28:31]
	ds_write_b128 v144, v[11:14] offset:16
	buffer_store_dword v144, off, s[28:31], 0 offset:1652 ; 4-byte Folded Spill
	ds_write_b128 v144, v[17:20] offset:32
	ds_write_b128 v150, v[32:35]
	ds_write_b128 v150, v[88:91] offset:16
	buffer_store_dword v150, off, s[28:31], 0 offset:1684 ; 4-byte Folded Spill
	ds_write_b128 v150, v[68:71] offset:32
	;; [unrolled: 4-line block ×9, first 2 shown]
	v_mul_lo_u16 v3, 0xab, v4
	s_waitcnt lgkmcnt(0)
	s_waitcnt_vscnt null, 0x0
	s_barrier
	buffer_gl0_inv
	s_clause 0x1
	global_load_dwordx4 v[196:199], v2, s[14:15]
	global_load_dwordx4 v[184:187], v2, s[14:15] offset:16
	v_lshlrev_b32_e32 v6, 5, v1
	v_mul_lo_u16 v2, v0, 3
	v_lshrrev_b16 v3, 9, v3
	v_mov_b32_e32 v110, 0xaaab
	v_add_co_ci_u32_e64 v67, null, 0, 0, s6
	s_clause 0x1
	global_load_dwordx4 v[172:175], v6, s[14:15]
	global_load_dwordx4 v[176:179], v6, s[14:15] offset:16
	v_sub_nc_u16 v2, v26, v2
	v_mul_lo_u16 v6, v3, 3
	v_and_b32_e32 v14, 0xff, v2
	v_sub_nc_u16 v2, v139, v6
	v_mul_u32_u24_sdwa v6, v25, v110 dst_sel:DWORD dst_unused:UNUSED_PAD src0_sel:WORD_0 src1_sel:DWORD
	v_lshlrev_b32_e32 v11, 5, v14
	v_and_b32_e32 v13, 0xff, v2
	v_lshrrev_b32_e32 v6, 17, v6
	global_load_dwordx4 v[192:195], v11, s[14:15]
	v_lshlrev_b32_e32 v2, 5, v13
	s_clause 0x1
	global_load_dwordx4 v[180:183], v11, s[14:15] offset:16
	global_load_dwordx4 v[168:171], v2, s[14:15]
	v_mul_lo_u16 v11, v6, 3
	v_sub_nc_u16 v12, v25, v11
	v_lshlrev_b16 v11, 1, v12
	v_lshlrev_b32_sdwa v11, v66, v11 dst_sel:DWORD dst_unused:UNUSED_PAD src0_sel:DWORD src1_sel:WORD_0
	s_clause 0x2
	global_load_dwordx4 v[164:167], v2, s[14:15] offset:16
	global_load_dwordx4 v[160:163], v11, s[14:15]
	global_load_dwordx4 v[152:155], v11, s[14:15] offset:16
	v_mul_u32_u24_sdwa v2, v24, v110 dst_sel:DWORD dst_unused:UNUSED_PAD src0_sel:WORD_0 src1_sel:DWORD
	v_lshrrev_b32_e32 v2, 17, v2
	v_mul_lo_u16 v11, v2, 3
	v_sub_nc_u16 v11, v24, v11
	v_lshlrev_b16 v15, 1, v11
	v_lshlrev_b32_sdwa v15, v66, v15 dst_sel:DWORD dst_unused:UNUSED_PAD src0_sel:DWORD src1_sel:WORD_0
	s_clause 0x1
	global_load_dwordx4 v[148:151], v15, s[14:15]
	global_load_dwordx4 v[208:211], v15, s[14:15] offset:16
	ds_read_b128 v[17:20], v138 offset:9072
	ds_read_b128 v[28:31], v138 offset:18144
	;; [unrolled: 1-line block ×9, first 2 shown]
	v_mul_u32_u24_sdwa v15, v23, v110 dst_sel:DWORD dst_unused:UNUSED_PAD src0_sel:WORD_0 src1_sel:DWORD
	v_lshrrev_b32_e32 v15, 17, v15
	s_waitcnt vmcnt(11) lgkmcnt(8)
	v_mul_f64 v[60:61], v[19:20], v[198:199]
	s_waitcnt vmcnt(10) lgkmcnt(7)
	v_mul_f64 v[64:65], v[30:31], v[186:187]
	v_mul_f64 v[62:63], v[17:18], v[198:199]
	;; [unrolled: 1-line block ×3, first 2 shown]
	s_waitcnt vmcnt(9) lgkmcnt(6)
	v_mul_f64 v[70:71], v[34:35], v[174:175]
	v_mul_f64 v[72:73], v[32:33], v[174:175]
	s_waitcnt vmcnt(8) lgkmcnt(5)
	v_mul_f64 v[74:75], v[38:39], v[178:179]
	v_mul_f64 v[76:77], v[36:37], v[178:179]
	v_fma_f64 v[60:61], v[17:18], v[196:197], -v[60:61]
	v_fma_f64 v[64:65], v[28:29], v[184:185], -v[64:65]
	v_fma_f64 v[62:63], v[19:20], v[196:197], v[62:63]
	ds_read_b128 v[17:20], v138 offset:13104
	s_waitcnt vmcnt(7) lgkmcnt(4)
	v_mul_f64 v[28:29], v[44:45], v[194:195]
	v_fma_f64 v[68:69], v[30:31], v[184:185], v[68:69]
	s_waitcnt vmcnt(6) lgkmcnt(3)
	v_mul_f64 v[30:31], v[50:51], v[182:183]
	v_mul_f64 v[78:79], v[46:47], v[194:195]
	v_fma_f64 v[70:71], v[32:33], v[172:173], -v[70:71]
	v_fma_f64 v[72:73], v[34:35], v[172:173], v[72:73]
	v_mul_f64 v[32:33], v[48:49], v[182:183]
	s_waitcnt vmcnt(5) lgkmcnt(2)
	v_mul_f64 v[34:35], v[54:55], v[170:171]
	v_fma_f64 v[74:75], v[36:37], v[176:177], -v[74:75]
	v_mul_f64 v[36:37], v[52:53], v[170:171]
	v_fma_f64 v[76:77], v[38:39], v[176:177], v[76:77]
	v_fma_f64 v[80:81], v[46:47], v[192:193], v[28:29]
	s_waitcnt vmcnt(4) lgkmcnt(1)
	v_mul_f64 v[38:39], v[58:59], v[166:167]
	s_waitcnt vmcnt(3) lgkmcnt(0)
	v_mul_f64 v[46:47], v[19:20], v[162:163]
	v_fma_f64 v[82:83], v[48:49], v[180:181], -v[30:31]
	ds_read_b128 v[28:31], v138 offset:22176
	v_mul_f64 v[48:49], v[17:18], v[162:163]
	v_fma_f64 v[84:85], v[50:51], v[180:181], v[32:33]
	v_fma_f64 v[86:87], v[52:53], v[168:169], -v[34:35]
	ds_read_b128 v[32:35], v138 offset:23184
	v_fma_f64 v[88:89], v[54:55], v[168:169], v[36:37]
	v_fma_f64 v[78:79], v[44:45], v[192:193], -v[78:79]
	v_mul_f64 v[44:45], v[56:57], v[166:167]
	v_add_f64 v[52:53], v[72:73], -v[76:77]
	v_fma_f64 v[90:91], v[56:57], v[164:165], -v[38:39]
	s_waitcnt vmcnt(2) lgkmcnt(1)
	v_mul_f64 v[36:37], v[30:31], v[154:155]
	v_fma_f64 v[94:95], v[17:18], v[160:161], -v[46:47]
	v_mul_f64 v[17:18], v[28:29], v[154:155]
	v_fma_f64 v[96:97], v[19:20], v[160:161], v[48:49]
	v_add_f64 v[48:49], v[60:61], -v[64:65]
	v_add_f64 v[56:57], v[70:71], -v[74:75]
	v_fma_f64 v[92:93], v[58:59], v[164:165], v[44:45]
	v_fma_f64 v[98:99], v[28:29], v[152:153], -v[36:37]
	v_fma_f64 v[100:101], v[30:31], v[152:153], v[17:18]
	ds_read_b128 v[17:20], v138 offset:14112
	ds_read_b128 v[28:31], v138 offset:15120
	s_waitcnt vmcnt(1) lgkmcnt(1)
	v_mul_f64 v[36:37], v[19:20], v[150:151]
	v_fma_f64 v[102:103], v[17:18], v[148:149], -v[36:37]
	v_mul_f64 v[17:18], v[17:18], v[150:151]
	v_fma_f64 v[104:105], v[19:20], v[148:149], v[17:18]
	s_waitcnt vmcnt(0)
	v_mul_f64 v[17:18], v[34:35], v[210:211]
	v_fma_f64 v[106:107], v[32:33], v[208:209], -v[17:18]
	v_mul_f64 v[17:18], v[32:33], v[210:211]
	v_fma_f64 v[108:109], v[34:35], v[208:209], v[17:18]
	v_mul_lo_u16 v17, v15, 3
	v_sub_nc_u16 v17, v23, v17
	v_lshlrev_b16 v18, 1, v17
	v_lshlrev_b32_sdwa v18, v66, v18 dst_sel:DWORD dst_unused:UNUSED_PAD src0_sel:DWORD src1_sel:WORD_0
	s_clause 0x1
	global_load_dwordx4 v[212:215], v18, s[14:15]
	global_load_dwordx4 v[216:219], v18, s[14:15] offset:16
	s_waitcnt vmcnt(1) lgkmcnt(0)
	v_mul_f64 v[18:19], v[30:31], v[214:215]
	v_fma_f64 v[116:117], v[28:29], v[212:213], -v[18:19]
	v_mul_f64 v[18:19], v[28:29], v[214:215]
	v_fma_f64 v[118:119], v[30:31], v[212:213], v[18:19]
	ds_read_b128 v[18:21], v138 offset:24192
	ds_read_b128 v[28:31], v138 offset:25200
	s_waitcnt vmcnt(0) lgkmcnt(1)
	v_mul_f64 v[32:33], v[20:21], v[218:219]
	v_fma_f64 v[120:121], v[18:19], v[216:217], -v[32:33]
	v_mul_f64 v[18:19], v[18:19], v[218:219]
	v_fma_f64 v[19:20], v[20:21], v[216:217], v[18:19]
	v_mul_u32_u24_sdwa v18, v22, v110 dst_sel:DWORD dst_unused:UNUSED_PAD src0_sel:WORD_0 src1_sel:DWORD
	v_lshrrev_b32_e32 v18, 17, v18
	v_mul_lo_u16 v21, v18, 3
	v_sub_nc_u16 v21, v22, v21
	v_lshlrev_b16 v32, 1, v21
	v_add_f64 v[122:123], v[118:119], v[19:20]
	v_lshlrev_b32_sdwa v32, v66, v32 dst_sel:DWORD dst_unused:UNUSED_PAD src0_sel:DWORD src1_sel:WORD_0
	s_clause 0x1
	global_load_dwordx4 v[220:223], v32, s[14:15]
	global_load_dwordx4 v[224:227], v32, s[14:15] offset:16
	ds_read_b128 v[32:35], v138 offset:16128
	ds_read_b128 v[36:39], v138 offset:17136
	s_waitcnt vmcnt(1) lgkmcnt(1)
	v_mul_f64 v[44:45], v[34:35], v[222:223]
	v_fma_f64 v[124:125], v[32:33], v[220:221], -v[44:45]
	v_mul_f64 v[32:33], v[32:33], v[222:223]
	v_add_f64 v[44:45], v[62:63], -v[68:69]
	v_fma_f64 v[126:127], v[34:35], v[220:221], v[32:33]
	s_waitcnt vmcnt(0)
	v_mul_f64 v[32:33], v[30:31], v[226:227]
	v_fma_f64 v[128:129], v[28:29], v[224:225], -v[32:33]
	v_mul_f64 v[28:29], v[28:29], v[226:227]
	v_fma_f64 v[130:131], v[30:31], v[224:225], v[28:29]
	v_mul_u32_u24_sdwa v28, v16, v110 dst_sel:DWORD dst_unused:UNUSED_PAD src0_sel:WORD_0 src1_sel:DWORD
	v_lshrrev_b32_e32 v136, 17, v28
	v_mul_lo_u16 v28, v136, 3
	v_sub_nc_u16 v137, v16, v28
	v_lshlrev_b16 v28, 1, v137
	v_lshlrev_b32_sdwa v28, v66, v28 dst_sel:DWORD dst_unused:UNUSED_PAD src0_sel:DWORD src1_sel:WORD_0
	s_clause 0x1
	global_load_dwordx4 v[228:231], v28, s[14:15]
	global_load_dwordx4 v[232:235], v28, s[14:15] offset:16
	s_waitcnt vmcnt(1) lgkmcnt(0)
	v_mul_f64 v[28:29], v[38:39], v[230:231]
	v_fma_f64 v[132:133], v[36:37], v[228:229], -v[28:29]
	v_mul_f64 v[28:29], v[36:37], v[230:231]
	v_add_f64 v[36:37], v[60:61], v[64:65]
	v_fma_f64 v[134:135], v[38:39], v[228:229], v[28:29]
	ds_read_b128 v[28:31], v138 offset:26208
	s_waitcnt vmcnt(0) lgkmcnt(0)
	v_mul_f64 v[32:33], v[30:31], v[234:235]
	v_fma_f64 v[140:141], v[28:29], v[232:233], -v[32:33]
	v_mul_f64 v[28:29], v[28:29], v[234:235]
	v_fma_f64 v[142:143], v[30:31], v[232:233], v[28:29]
	ds_read_b128 v[28:31], v138
	ds_read_b128 v[32:35], v138 offset:1008
	s_waitcnt lgkmcnt(1)
	v_fma_f64 v[38:39], v[36:37], -0.5, v[28:29]
	v_add_f64 v[36:37], v[62:63], v[68:69]
	v_add_f64 v[28:29], v[28:29], v[60:61]
	v_fma_f64 v[46:47], v[36:37], -0.5, v[30:31]
	v_fma_f64 v[36:37], v[44:45], s[0:1], v[38:39]
	v_fma_f64 v[44:45], v[44:45], s[2:3], v[38:39]
	v_add_f64 v[30:31], v[30:31], v[62:63]
	v_add_f64 v[28:29], v[28:29], v[64:65]
	;; [unrolled: 1-line block ×3, first 2 shown]
	v_fma_f64 v[38:39], v[48:49], s[2:3], v[46:47]
	v_fma_f64 v[46:47], v[48:49], s[0:1], v[46:47]
	v_add_f64 v[48:49], v[70:71], v[74:75]
	v_add_f64 v[30:31], v[30:31], v[68:69]
	;; [unrolled: 1-line block ×3, first 2 shown]
	s_waitcnt lgkmcnt(0)
	v_fma_f64 v[50:51], v[48:49], -0.5, v[32:33]
	v_add_f64 v[48:49], v[72:73], v[76:77]
	v_add_f64 v[32:33], v[32:33], v[70:71]
	v_add_f64 v[70:71], v[80:81], -v[84:85]
	v_fma_f64 v[54:55], v[48:49], -0.5, v[34:35]
	v_add_f64 v[34:35], v[34:35], v[72:73]
	v_fma_f64 v[48:49], v[52:53], s[0:1], v[50:51]
	v_fma_f64 v[52:53], v[52:53], s[2:3], v[50:51]
	v_add_f64 v[32:33], v[32:33], v[74:75]
	v_fma_f64 v[50:51], v[56:57], s[2:3], v[54:55]
	v_fma_f64 v[54:55], v[56:57], s[0:1], v[54:55]
	ds_read_b128 v[56:59], v138 offset:2016
	ds_read_b128 v[60:63], v138 offset:3024
	v_add_f64 v[34:35], v[34:35], v[76:77]
	v_add_f64 v[76:77], v[78:79], -v[82:83]
	s_waitcnt lgkmcnt(1)
	v_fma_f64 v[64:65], v[64:65], -0.5, v[56:57]
	v_fma_f64 v[74:75], v[68:69], -0.5, v[58:59]
	v_add_f64 v[56:57], v[56:57], v[78:79]
	v_add_f64 v[58:59], v[58:59], v[80:81]
	v_add_f64 v[78:79], v[88:89], -v[92:93]
	v_fma_f64 v[68:69], v[70:71], s[0:1], v[64:65]
	v_fma_f64 v[72:73], v[70:71], s[2:3], v[64:65]
	v_fma_f64 v[70:71], v[76:77], s[2:3], v[74:75]
	v_fma_f64 v[74:75], v[76:77], s[0:1], v[74:75]
	v_add_f64 v[64:65], v[86:87], v[90:91]
	v_add_f64 v[76:77], v[88:89], v[92:93]
	;; [unrolled: 1-line block ×4, first 2 shown]
	v_add_f64 v[84:85], v[86:87], -v[90:91]
	s_waitcnt lgkmcnt(0)
	v_fma_f64 v[64:65], v[64:65], -0.5, v[60:61]
	v_fma_f64 v[82:83], v[76:77], -0.5, v[62:63]
	v_add_f64 v[62:63], v[62:63], v[88:89]
	v_add_f64 v[60:61], v[60:61], v[86:87]
	v_fma_f64 v[76:77], v[78:79], s[0:1], v[64:65]
	v_fma_f64 v[80:81], v[78:79], s[2:3], v[64:65]
	v_add_f64 v[62:63], v[62:63], v[92:93]
	v_add_f64 v[64:65], v[94:95], v[98:99]
	;; [unrolled: 1-line block ×4, first 2 shown]
	v_fma_f64 v[78:79], v[84:85], s[2:3], v[82:83]
	v_fma_f64 v[82:83], v[84:85], s[0:1], v[82:83]
	ds_read_b128 v[84:87], v138 offset:4032
	ds_read_b128 v[88:91], v138 offset:5040
	s_waitcnt lgkmcnt(1)
	v_fma_f64 v[64:65], v[64:65], -0.5, v[84:85]
	v_fma_f64 v[110:111], v[92:93], -0.5, v[86:87]
	v_add_f64 v[86:87], v[86:87], v[96:97]
	v_add_f64 v[96:97], v[96:97], -v[100:101]
	v_add_f64 v[84:85], v[84:85], v[94:95]
	v_add_f64 v[86:87], v[86:87], v[100:101]
	v_fma_f64 v[92:93], v[96:97], s[0:1], v[64:65]
	v_fma_f64 v[96:97], v[96:97], s[2:3], v[64:65]
	v_add_f64 v[64:65], v[102:103], v[106:107]
	v_add_f64 v[84:85], v[84:85], v[98:99]
	v_add_f64 v[98:99], v[94:95], -v[98:99]
	v_add_f64 v[100:101], v[104:105], v[108:109]
	s_waitcnt lgkmcnt(0)
	v_fma_f64 v[64:65], v[64:65], -0.5, v[88:89]
	v_add_f64 v[88:89], v[88:89], v[102:103]
	v_fma_f64 v[94:95], v[98:99], s[2:3], v[110:111]
	v_fma_f64 v[98:99], v[98:99], s[0:1], v[110:111]
	v_fma_f64 v[110:111], v[100:101], -0.5, v[90:91]
	v_add_f64 v[90:91], v[90:91], v[104:105]
	v_add_f64 v[104:105], v[104:105], -v[108:109]
	v_add_f64 v[88:89], v[88:89], v[106:107]
	v_add_f64 v[106:107], v[102:103], -v[106:107]
	v_add_f64 v[90:91], v[90:91], v[108:109]
	v_fma_f64 v[100:101], v[104:105], s[0:1], v[64:65]
	v_fma_f64 v[104:105], v[104:105], s[2:3], v[64:65]
	v_add_f64 v[64:65], v[116:117], v[120:121]
	v_fma_f64 v[102:103], v[106:107], s[2:3], v[110:111]
	v_fma_f64 v[106:107], v[106:107], s[0:1], v[110:111]
	ds_read_b128 v[108:111], v138 offset:6048
	ds_read_b128 v[112:115], v138 offset:7056
	s_waitcnt lgkmcnt(0)
	s_barrier
	buffer_gl0_inv
	v_fma_f64 v[64:65], v[64:65], -0.5, v[108:109]
	v_fma_f64 v[122:123], v[122:123], -0.5, v[110:111]
	v_add_f64 v[110:111], v[110:111], v[118:119]
	v_add_f64 v[108:109], v[108:109], v[116:117]
	v_add_f64 v[118:119], v[118:119], -v[19:20]
	v_add_f64 v[110:111], v[110:111], v[19:20]
	v_add_f64 v[108:109], v[108:109], v[120:121]
	v_add_f64 v[19:20], v[116:117], -v[120:121]
	v_fma_f64 v[116:117], v[118:119], s[0:1], v[64:65]
	v_fma_f64 v[120:121], v[118:119], s[2:3], v[64:65]
	v_add_f64 v[64:65], v[126:127], v[130:131]
	v_fma_f64 v[118:119], v[19:20], s[2:3], v[122:123]
	v_fma_f64 v[122:123], v[19:20], s[0:1], v[122:123]
	v_add_f64 v[19:20], v[124:125], v[128:129]
	v_fma_f64 v[64:65], v[64:65], -0.5, v[114:115]
	v_add_f64 v[114:115], v[114:115], v[126:127]
	v_add_f64 v[126:127], v[126:127], -v[130:131]
	v_fma_f64 v[19:20], v[19:20], -0.5, v[112:113]
	v_add_f64 v[112:113], v[112:113], v[124:125]
	v_add_f64 v[114:115], v[114:115], v[130:131]
	v_add_f64 v[130:131], v[124:125], -v[128:129]
	v_fma_f64 v[124:125], v[126:127], s[0:1], v[19:20]
	v_add_f64 v[112:113], v[112:113], v[128:129]
	v_fma_f64 v[128:129], v[126:127], s[2:3], v[19:20]
	v_fma_f64 v[126:127], v[130:131], s[2:3], v[64:65]
	;; [unrolled: 1-line block ×3, first 2 shown]
	v_add_f64 v[19:20], v[132:133], v[140:141]
	v_add_f64 v[64:65], v[134:135], v[142:143]
	v_fma_f64 v[19:20], v[19:20], -0.5, v[40:41]
	v_fma_f64 v[64:65], v[64:65], -0.5, v[42:43]
	v_add_f64 v[42:43], v[42:43], v[134:135]
	v_add_f64 v[40:41], v[40:41], v[132:133]
	v_add_f64 v[134:135], v[134:135], -v[142:143]
	v_add_f64 v[42:43], v[42:43], v[142:143]
	v_add_f64 v[40:41], v[40:41], v[140:141]
	v_add_f64 v[142:143], v[132:133], -v[140:141]
	v_fma_f64 v[132:133], v[134:135], s[0:1], v[19:20]
	v_fma_f64 v[140:141], v[134:135], s[2:3], v[19:20]
	v_mov_b32_e32 v19, 9
	v_mul_u32_u24_sdwa v10, v10, v19 dst_sel:DWORD dst_unused:UNUSED_PAD src0_sel:WORD_0 src1_sel:DWORD
	v_mul_u32_u24_sdwa v5, v5, v19 dst_sel:DWORD dst_unused:UNUSED_PAD src0_sel:WORD_0 src1_sel:DWORD
	;; [unrolled: 1-line block ×3, first 2 shown]
	v_add_lshl_u32 v7, v10, v7, 4
	v_add_lshl_u32 v1, v5, v1, 4
	v_add_lshl_u32 v0, v0, v14, 4
	ds_write_b128 v7, v[28:31]
	ds_write_b128 v7, v[36:39] offset:48
	buffer_store_dword v7, off, s[28:31], 0 offset:1648 ; 4-byte Folded Spill
	ds_write_b128 v7, v[44:47] offset:96
	ds_write_b128 v1, v[32:35]
	ds_write_b128 v1, v[48:51] offset:48
	buffer_store_dword v1, off, s[28:31], 0 offset:1644 ; 4-byte Folded Spill
	ds_write_b128 v1, v[52:55] offset:96
	;; [unrolled: 4-line block ×3, first 2 shown]
	v_mul_u32_u24_sdwa v0, v3, v19 dst_sel:DWORD dst_unused:UNUSED_PAD src0_sel:WORD_0 src1_sel:DWORD
	v_fma_f64 v[134:135], v[142:143], s[2:3], v[64:65]
	v_fma_f64 v[142:143], v[142:143], s[0:1], v[64:65]
	v_mul_lo_u16 v7, v9, 57
	v_add_lshl_u32 v0, v0, v13, 4
	ds_write_b128 v0, v[60:63]
	ds_write_b128 v0, v[76:79] offset:48
	buffer_store_dword v0, off, s[28:31], 0 offset:1636 ; 4-byte Folded Spill
	ds_write_b128 v0, v[80:83] offset:96
	v_mad_u16 v0, v6, 9, v12
	v_lshrrev_b16 v7, 9, v7
	v_mov_b32_e32 v60, 0xe38f
	v_lshlrev_b32_sdwa v0, v66, v0 dst_sel:DWORD dst_unused:UNUSED_PAD src0_sel:DWORD src1_sel:WORD_0
	ds_write_b128 v0, v[84:87]
	ds_write_b128 v0, v[92:95] offset:48
	buffer_store_dword v0, off, s[28:31], 0 offset:1616 ; 4-byte Folded Spill
	ds_write_b128 v0, v[96:99] offset:96
	v_mad_u16 v0, v2, 9, v11
	v_lshlrev_b32_sdwa v0, v66, v0 dst_sel:DWORD dst_unused:UNUSED_PAD src0_sel:DWORD src1_sel:WORD_0
	ds_write_b128 v0, v[88:91]
	ds_write_b128 v0, v[100:103] offset:48
	buffer_store_dword v0, off, s[28:31], 0 offset:1564 ; 4-byte Folded Spill
	ds_write_b128 v0, v[104:107] offset:96
	v_mad_u16 v0, v15, 9, v17
	v_lshlrev_b32_sdwa v3, v66, v0 dst_sel:DWORD dst_unused:UNUSED_PAD src0_sel:DWORD src1_sel:WORD_0
	v_mul_lo_u16 v0, v236, 57
	ds_write_b128 v3, v[108:111]
	v_lshrrev_b16 v5, 9, v0
	v_mad_u16 v0, v18, 9, v21
	ds_write_b128 v3, v[116:119] offset:48
	buffer_store_dword v3, off, s[28:31], 0 offset:1528 ; 4-byte Folded Spill
	v_mul_lo_u16 v1, v5, 9
	v_lshlrev_b32_sdwa v2, v66, v0 dst_sel:DWORD dst_unused:UNUSED_PAD src0_sel:DWORD src1_sel:WORD_0
	ds_write_b128 v3, v[120:123] offset:96
	ds_write_b128 v2, v[112:115]
	ds_write_b128 v2, v[124:127] offset:48
	v_sub_nc_u16 v1, v240, v1
	buffer_store_dword v2, off, s[28:31], 0 offset:1476 ; 4-byte Folded Spill
	v_mul_lo_u16 v5, v5, 27
	v_and_b32_e32 v6, 0xff, v1
	v_mad_u16 v1, v136, 9, v137
	v_and_b32_e32 v5, 0xff, v5
	v_lshlrev_b32_e32 v0, 5, v6
	v_lshlrev_b32_sdwa v1, v66, v1 dst_sel:DWORD dst_unused:UNUSED_PAD src0_sel:DWORD src1_sel:WORD_0
	ds_write_b128 v2, v[128:131] offset:96
	ds_write_b128 v1, v[40:43]
	ds_write_b128 v1, v[132:135] offset:48
	ds_write_b128 v1, v[140:143] offset:96
	s_waitcnt lgkmcnt(0)
	s_waitcnt_vscnt null, 0x0
	s_barrier
	buffer_gl0_inv
	s_clause 0x1
	global_load_dwordx4 v[46:49], v0, s[14:15] offset:96
	global_load_dwordx4 v[38:41], v0, s[14:15] offset:112
	v_mov_b32_e32 v133, v1
	ds_read_b128 v[10:13], v138 offset:9072
	ds_read_b128 v[0:3], v138 offset:8064
	;; [unrolled: 1-line block ×4, first 2 shown]
	v_add_lshl_u32 v5, v5, v6, 4
	s_waitcnt vmcnt(1) lgkmcnt(3)
	v_mul_f64 v[14:15], v[12:13], v[48:49]
	s_waitcnt vmcnt(0) lgkmcnt(1)
	v_mul_f64 v[34:35], v[19:20], v[40:41]
	v_mul_f64 v[32:33], v[10:11], v[48:49]
	;; [unrolled: 1-line block ×3, first 2 shown]
	v_fma_f64 v[44:45], v[10:11], v[46:47], -v[14:15]
	buffer_store_dword v46, off, s[28:31], 0 offset:1444 ; 4-byte Folded Spill
	buffer_store_dword v47, off, s[28:31], 0 offset:1448 ; 4-byte Folded Spill
	;; [unrolled: 1-line block ×4, first 2 shown]
	v_fma_f64 v[48:49], v[17:18], v[38:39], -v[34:35]
	buffer_store_dword v38, off, s[28:31], 0 offset:1428 ; 4-byte Folded Spill
	buffer_store_dword v39, off, s[28:31], 0 offset:1432 ; 4-byte Folded Spill
	buffer_store_dword v40, off, s[28:31], 0 offset:1436 ; 4-byte Folded Spill
	buffer_store_dword v41, off, s[28:31], 0 offset:1440 ; 4-byte Folded Spill
	v_mul_lo_u16 v10, v7, 9
	v_sub_nc_u16 v10, v27, v10
	v_and_b32_e32 v10, 0xff, v10
	v_lshlrev_b32_e32 v11, 5, v10
	v_fma_f64 v[46:47], v[12:13], v[46:47], v[32:33]
	v_fma_f64 v[50:51], v[19:20], v[38:39], v[36:37]
	s_clause 0x1
	global_load_dwordx4 v[34:37], v11, s[14:15] offset:96
	global_load_dwordx4 v[38:41], v11, s[14:15] offset:112
	ds_read_b128 v[11:14], v138 offset:10080
	ds_read_b128 v[17:20], v138 offset:11088
	s_waitcnt vmcnt(1) lgkmcnt(1)
	v_mul_f64 v[32:33], v[13:14], v[36:37]
	v_fma_f64 v[52:53], v[11:12], v[34:35], -v[32:33]
	v_mul_f64 v[11:12], v[11:12], v[36:37]
	buffer_store_dword v34, off, s[28:31], 0 offset:1460 ; 4-byte Folded Spill
	buffer_store_dword v35, off, s[28:31], 0 offset:1464 ; 4-byte Folded Spill
	;; [unrolled: 1-line block ×4, first 2 shown]
	v_fma_f64 v[54:55], v[13:14], v[34:35], v[11:12]
	s_waitcnt vmcnt(0)
	v_mul_f64 v[11:12], v[30:31], v[40:41]
	v_fma_f64 v[56:57], v[28:29], v[38:39], -v[11:12]
	v_mul_f64 v[11:12], v[28:29], v[40:41]
	buffer_store_dword v38, off, s[28:31], 0 offset:1480 ; 4-byte Folded Spill
	buffer_store_dword v39, off, s[28:31], 0 offset:1484 ; 4-byte Folded Spill
	;; [unrolled: 1-line block ×4, first 2 shown]
	v_fma_f64 v[58:59], v[30:31], v[38:39], v[11:12]
	v_mul_lo_u16 v11, v8, 57
	v_lshrrev_b16 v11, 9, v11
	v_mul_lo_u16 v12, v11, 9
	v_sub_nc_u16 v12, v26, v12
	v_and_b32_e32 v12, 0xff, v12
	v_lshlrev_b32_e32 v13, 5, v12
	s_clause 0x1
	global_load_dwordx4 v[28:31], v13, s[14:15] offset:96
	global_load_dwordx4 v[32:35], v13, s[14:15] offset:112
	s_waitcnt vmcnt(1) lgkmcnt(0)
	v_mul_f64 v[13:14], v[19:20], v[30:31]
	v_fma_f64 v[62:63], v[17:18], v[28:29], -v[13:14]
	v_mul_f64 v[13:14], v[17:18], v[30:31]
	buffer_store_dword v28, off, s[28:31], 0 offset:1496 ; 4-byte Folded Spill
	buffer_store_dword v29, off, s[28:31], 0 offset:1500 ; 4-byte Folded Spill
	;; [unrolled: 1-line block ×4, first 2 shown]
	v_fma_f64 v[64:65], v[19:20], v[28:29], v[13:14]
	ds_read_b128 v[17:20], v138 offset:20160
	ds_read_b128 v[28:31], v138 offset:21168
	s_waitcnt vmcnt(0) lgkmcnt(1)
	v_mul_f64 v[13:14], v[19:20], v[34:35]
	v_fma_f64 v[68:69], v[17:18], v[32:33], -v[13:14]
	v_mul_f64 v[13:14], v[17:18], v[34:35]
	buffer_store_dword v32, off, s[28:31], 0 offset:1512 ; 4-byte Folded Spill
	buffer_store_dword v33, off, s[28:31], 0 offset:1516 ; 4-byte Folded Spill
	;; [unrolled: 1-line block ×4, first 2 shown]
	v_fma_f64 v[70:71], v[19:20], v[32:33], v[13:14]
	v_mul_lo_u16 v13, v4, 57
	v_lshrrev_b16 v13, 9, v13
	v_mul_lo_u16 v14, v13, 9
	v_sub_nc_u16 v14, v139, v14
	v_and_b32_e32 v14, 0xff, v14
	v_lshlrev_b32_e32 v15, 5, v14
	s_clause 0x1
	global_load_dwordx4 v[38:41], v15, s[14:15] offset:96
	global_load_dwordx4 v[78:81], v15, s[14:15] offset:112
	ds_read_b128 v[17:20], v138 offset:12096
	ds_read_b128 v[32:35], v138 offset:13104
	v_mul_u32_u24_sdwa v15, v25, v60 dst_sel:DWORD dst_unused:UNUSED_PAD src0_sel:WORD_0 src1_sel:DWORD
	v_lshrrev_b32_e32 v15, 19, v15
	s_waitcnt vmcnt(1) lgkmcnt(1)
	v_mul_f64 v[36:37], v[19:20], v[40:41]
	v_fma_f64 v[72:73], v[17:18], v[38:39], -v[36:37]
	v_mul_f64 v[17:18], v[17:18], v[40:41]
	buffer_store_dword v38, off, s[28:31], 0 offset:1532 ; 4-byte Folded Spill
	buffer_store_dword v39, off, s[28:31], 0 offset:1536 ; 4-byte Folded Spill
	;; [unrolled: 1-line block ×4, first 2 shown]
	v_fma_f64 v[74:75], v[19:20], v[38:39], v[17:18]
	s_waitcnt vmcnt(0)
	v_mul_f64 v[17:18], v[30:31], v[80:81]
	v_fma_f64 v[76:77], v[28:29], v[78:79], -v[17:18]
	v_mul_f64 v[17:18], v[28:29], v[80:81]
	buffer_store_dword v78, off, s[28:31], 0 offset:1548 ; 4-byte Folded Spill
	buffer_store_dword v79, off, s[28:31], 0 offset:1552 ; 4-byte Folded Spill
	;; [unrolled: 1-line block ×4, first 2 shown]
	v_fma_f64 v[78:79], v[30:31], v[78:79], v[17:18]
	v_mul_lo_u16 v17, v15, 9
	v_sub_nc_u16 v17, v25, v17
	v_lshlrev_b16 v18, 5, v17
	v_and_b32_e32 v18, 0xffff, v18
	v_add_co_u32 v18, s6, s14, v18
	v_add_co_ci_u32_e64 v19, null, s15, 0, s6
	s_clause 0x1
	global_load_dwordx4 v[28:31], v[18:19], off offset:96
	global_load_dwordx4 v[36:39], v[18:19], off offset:112
	s_waitcnt vmcnt(1) lgkmcnt(0)
	v_mul_f64 v[18:19], v[34:35], v[30:31]
	v_fma_f64 v[88:89], v[32:33], v[28:29], -v[18:19]
	v_mul_f64 v[18:19], v[32:33], v[30:31]
	buffer_store_dword v28, off, s[28:31], 0 offset:1568 ; 4-byte Folded Spill
	buffer_store_dword v29, off, s[28:31], 0 offset:1572 ; 4-byte Folded Spill
	;; [unrolled: 1-line block ×4, first 2 shown]
	v_fma_f64 v[90:91], v[34:35], v[28:29], v[18:19]
	ds_read_b128 v[18:21], v138 offset:22176
	ds_read_b128 v[28:31], v138 offset:23184
	s_waitcnt vmcnt(0) lgkmcnt(1)
	v_mul_f64 v[32:33], v[20:21], v[38:39]
	v_fma_f64 v[92:93], v[18:19], v[36:37], -v[32:33]
	v_mul_f64 v[18:19], v[18:19], v[38:39]
	buffer_store_dword v36, off, s[28:31], 0 offset:1584 ; 4-byte Folded Spill
	buffer_store_dword v37, off, s[28:31], 0 offset:1588 ; 4-byte Folded Spill
	;; [unrolled: 1-line block ×4, first 2 shown]
	v_add_f64 v[104:105], v[88:89], v[92:93]
	v_fma_f64 v[94:95], v[20:21], v[36:37], v[18:19]
	v_mul_u32_u24_sdwa v18, v24, v60 dst_sel:DWORD dst_unused:UNUSED_PAD src0_sel:WORD_0 src1_sel:DWORD
	v_lshrrev_b32_e32 v18, 19, v18
	v_mul_lo_u16 v19, v18, 9
	v_sub_nc_u16 v19, v24, v19
	v_lshlrev_b16 v20, 5, v19
	v_add_f64 v[106:107], v[90:91], v[94:95]
	v_and_b32_e32 v20, 0xffff, v20
	v_add_co_u32 v20, s6, s14, v20
	v_add_co_ci_u32_e64 v21, null, s15, 0, s6
	s_clause 0x1
	global_load_dwordx4 v[40:43], v[20:21], off offset:96
	global_load_dwordx4 v[80:83], v[20:21], off offset:112
	ds_read_b128 v[32:35], v138 offset:14112
	ds_read_b128 v[36:39], v138 offset:15120
	s_waitcnt vmcnt(1) lgkmcnt(1)
	v_mul_f64 v[20:21], v[34:35], v[42:43]
	v_fma_f64 v[96:97], v[32:33], v[40:41], -v[20:21]
	v_mul_f64 v[20:21], v[32:33], v[42:43]
	buffer_store_dword v40, off, s[28:31], 0 offset:1600 ; 4-byte Folded Spill
	buffer_store_dword v41, off, s[28:31], 0 offset:1604 ; 4-byte Folded Spill
	;; [unrolled: 1-line block ×4, first 2 shown]
	v_fma_f64 v[98:99], v[34:35], v[40:41], v[20:21]
	s_waitcnt vmcnt(0)
	v_mul_f64 v[20:21], v[30:31], v[82:83]
	v_fma_f64 v[100:101], v[28:29], v[80:81], -v[20:21]
	v_mul_f64 v[20:21], v[28:29], v[82:83]
	buffer_store_dword v80, off, s[28:31], 0 offset:1620 ; 4-byte Folded Spill
	buffer_store_dword v81, off, s[28:31], 0 offset:1624 ; 4-byte Folded Spill
	;; [unrolled: 1-line block ×4, first 2 shown]
	v_add_f64 v[82:83], v[64:65], v[70:71]
	v_fma_f64 v[102:103], v[30:31], v[80:81], v[20:21]
	v_mul_u32_u24_sdwa v20, v23, v60 dst_sel:DWORD dst_unused:UNUSED_PAD src0_sel:WORD_0 src1_sel:DWORD
	v_add_f64 v[80:81], v[62:63], v[68:69]
	v_lshrrev_b32_e32 v20, 19, v20
	v_mul_lo_u16 v21, v20, 9
	v_sub_nc_u16 v21, v23, v21
	v_lshlrev_b16 v28, 5, v21
	v_and_b32_e32 v28, 0xffff, v28
	v_add_co_u32 v28, s6, s14, v28
	v_add_co_ci_u32_e64 v29, null, s15, 0, s6
	s_clause 0x1
	global_load_dwordx4 v[140:143], v[28:29], off offset:96
	global_load_dwordx4 v[144:147], v[28:29], off offset:112
	s_waitcnt vmcnt(1) lgkmcnt(0)
	v_mul_f64 v[28:29], v[38:39], v[142:143]
	v_fma_f64 v[112:113], v[36:37], v[140:141], -v[28:29]
	v_mul_f64 v[28:29], v[36:37], v[142:143]
	v_fma_f64 v[114:115], v[38:39], v[140:141], v[28:29]
	ds_read_b128 v[28:31], v138 offset:24192
	ds_read_b128 v[32:35], v138 offset:25200
	s_waitcnt vmcnt(0) lgkmcnt(1)
	v_mul_f64 v[36:37], v[30:31], v[146:147]
	v_fma_f64 v[116:117], v[28:29], v[144:145], -v[36:37]
	v_mul_f64 v[28:29], v[28:29], v[146:147]
	v_add_f64 v[243:244], v[112:113], v[116:117]
	v_fma_f64 v[118:119], v[30:31], v[144:145], v[28:29]
	v_mul_u32_u24_sdwa v28, v22, v60 dst_sel:DWORD dst_unused:UNUSED_PAD src0_sel:WORD_0 src1_sel:DWORD
	v_lshrrev_b32_e32 v28, 19, v28
	v_mul_lo_u16 v29, v28, 9
	v_sub_nc_u16 v29, v22, v29
	v_lshlrev_b16 v30, 5, v29
	v_add_f64 v[245:246], v[114:115], v[118:119]
	v_and_b32_e32 v30, 0xffff, v30
	v_add_co_u32 v30, s6, s14, v30
	v_add_co_ci_u32_e64 v31, null, s15, 0, s6
	s_clause 0x1
	global_load_dwordx4 v[156:159], v[30:31], off offset:96
	global_load_dwordx4 v[188:191], v[30:31], off offset:112
	ds_read_b128 v[36:39], v138 offset:16128
	ds_read_b128 v[40:43], v138 offset:17136
	s_waitcnt vmcnt(1) lgkmcnt(1)
	v_mul_f64 v[30:31], v[38:39], v[158:159]
	v_fma_f64 v[120:121], v[36:37], v[156:157], -v[30:31]
	v_mul_f64 v[30:31], v[36:37], v[158:159]
	v_fma_f64 v[122:123], v[38:39], v[156:157], v[30:31]
	s_waitcnt vmcnt(0)
	v_mul_f64 v[30:31], v[34:35], v[190:191]
	v_add_f64 v[38:39], v[44:45], v[48:49]
	v_fma_f64 v[124:125], v[32:33], v[188:189], -v[30:31]
	v_mul_f64 v[30:31], v[32:33], v[190:191]
	v_fma_f64 v[126:127], v[34:35], v[188:189], v[30:31]
	v_mul_u32_u24_sdwa v30, v16, v60 dst_sel:DWORD dst_unused:UNUSED_PAD src0_sel:WORD_0 src1_sel:DWORD
	v_lshrrev_b32_e32 v136, 19, v30
	v_mul_lo_u16 v30, v136, 9
	v_sub_nc_u16 v137, v16, v30
	v_lshlrev_b16 v30, 5, v137
	v_and_b32_e32 v30, 0xffff, v30
	v_add_co_u32 v30, s6, s14, v30
	v_add_co_ci_u32_e64 v31, null, s15, 0, s6
	s_clause 0x1
	global_load_dwordx4 v[200:203], v[30:31], off offset:96
	global_load_dwordx4 v[204:207], v[30:31], off offset:112
	s_waitcnt vmcnt(1) lgkmcnt(0)
	v_mul_f64 v[30:31], v[42:43], v[202:203]
	v_fma_f64 v[128:129], v[40:41], v[200:201], -v[30:31]
	v_mul_f64 v[30:31], v[40:41], v[202:203]
	v_fma_f64 v[130:131], v[42:43], v[200:201], v[30:31]
	ds_read_b128 v[30:33], v138 offset:26208
	v_add_f64 v[42:43], v[46:47], -v[50:51]
	s_waitcnt vmcnt(0) lgkmcnt(0)
	v_mul_f64 v[34:35], v[32:33], v[206:207]
	v_fma_f64 v[237:238], v[30:31], v[204:205], -v[34:35]
	v_mul_f64 v[30:31], v[30:31], v[206:207]
	v_fma_f64 v[241:242], v[32:33], v[204:205], v[30:31]
	ds_read_b128 v[30:33], v138
	ds_read_b128 v[34:37], v138 offset:1008
	s_waitcnt lgkmcnt(1)
	v_fma_f64 v[40:41], v[38:39], -0.5, v[30:31]
	v_add_f64 v[38:39], v[46:47], v[50:51]
	v_add_f64 v[30:31], v[30:31], v[44:45]
	v_add_f64 v[44:45], v[44:45], -v[48:49]
	v_fma_f64 v[60:61], v[38:39], -0.5, v[32:33]
	v_add_f64 v[32:33], v[32:33], v[46:47]
	v_add_f64 v[46:47], v[52:53], v[56:57]
	;; [unrolled: 1-line block ×3, first 2 shown]
	v_fma_f64 v[38:39], v[42:43], s[0:1], v[40:41]
	v_fma_f64 v[42:43], v[42:43], s[2:3], v[40:41]
	;; [unrolled: 1-line block ×3, first 2 shown]
	v_add_f64 v[32:33], v[32:33], v[50:51]
	s_waitcnt lgkmcnt(0)
	v_fma_f64 v[48:49], v[46:47], -0.5, v[34:35]
	v_add_f64 v[46:47], v[54:55], v[58:59]
	v_fma_f64 v[44:45], v[44:45], s[0:1], v[60:61]
	v_add_f64 v[34:35], v[34:35], v[52:53]
	v_add_f64 v[50:51], v[54:55], -v[58:59]
	v_add_f64 v[52:53], v[52:53], -v[56:57]
	v_fma_f64 v[60:61], v[46:47], -0.5, v[36:37]
	v_add_f64 v[36:37], v[36:37], v[54:55]
	v_add_f64 v[34:35], v[34:35], v[56:57]
	v_fma_f64 v[46:47], v[50:51], s[0:1], v[48:49]
	v_fma_f64 v[50:51], v[50:51], s[2:3], v[48:49]
	;; [unrolled: 1-line block ×3, first 2 shown]
	v_add_f64 v[36:37], v[36:37], v[58:59]
	v_fma_f64 v[52:53], v[52:53], s[0:1], v[60:61]
	ds_read_b128 v[54:57], v138 offset:2016
	ds_read_b128 v[58:61], v138 offset:3024
	s_waitcnt lgkmcnt(1)
	v_fma_f64 v[82:83], v[82:83], -0.5, v[56:57]
	v_add_f64 v[56:57], v[56:57], v[64:65]
	v_fma_f64 v[80:81], v[80:81], -0.5, v[54:55]
	v_add_f64 v[54:55], v[54:55], v[62:63]
	v_add_f64 v[64:65], v[64:65], -v[70:71]
	v_add_f64 v[56:57], v[56:57], v[70:71]
	v_add_f64 v[70:71], v[62:63], -v[68:69]
	v_add_f64 v[54:55], v[54:55], v[68:69]
	v_fma_f64 v[62:63], v[64:65], s[0:1], v[80:81]
	v_fma_f64 v[68:69], v[64:65], s[2:3], v[80:81]
	v_add_f64 v[80:81], v[72:73], v[76:77]
	v_fma_f64 v[64:65], v[70:71], s[2:3], v[82:83]
	v_fma_f64 v[70:71], v[70:71], s[0:1], v[82:83]
	v_add_f64 v[82:83], v[74:75], v[78:79]
	s_waitcnt lgkmcnt(0)
	v_fma_f64 v[80:81], v[80:81], -0.5, v[58:59]
	v_add_f64 v[58:59], v[58:59], v[72:73]
	v_fma_f64 v[82:83], v[82:83], -0.5, v[60:61]
	v_add_f64 v[60:61], v[60:61], v[74:75]
	v_add_f64 v[74:75], v[74:75], -v[78:79]
	v_add_f64 v[58:59], v[58:59], v[76:77]
	v_add_f64 v[60:61], v[60:61], v[78:79]
	v_add_f64 v[78:79], v[72:73], -v[76:77]
	v_fma_f64 v[72:73], v[74:75], s[0:1], v[80:81]
	v_fma_f64 v[76:77], v[74:75], s[2:3], v[80:81]
	;; [unrolled: 1-line block ×4, first 2 shown]
	ds_read_b128 v[80:83], v138 offset:4032
	ds_read_b128 v[84:87], v138 offset:5040
	s_waitcnt lgkmcnt(1)
	v_fma_f64 v[106:107], v[106:107], -0.5, v[82:83]
	v_add_f64 v[82:83], v[82:83], v[90:91]
	v_fma_f64 v[104:105], v[104:105], -0.5, v[80:81]
	v_add_f64 v[80:81], v[80:81], v[88:89]
	v_add_f64 v[90:91], v[90:91], -v[94:95]
	v_add_f64 v[82:83], v[82:83], v[94:95]
	v_add_f64 v[94:95], v[88:89], -v[92:93]
	v_add_f64 v[80:81], v[80:81], v[92:93]
	v_fma_f64 v[88:89], v[90:91], s[0:1], v[104:105]
	v_fma_f64 v[92:93], v[90:91], s[2:3], v[104:105]
	v_add_f64 v[104:105], v[96:97], v[100:101]
	v_fma_f64 v[90:91], v[94:95], s[2:3], v[106:107]
	v_fma_f64 v[94:95], v[94:95], s[0:1], v[106:107]
	v_add_f64 v[106:107], v[98:99], v[102:103]
	s_waitcnt lgkmcnt(0)
	v_fma_f64 v[104:105], v[104:105], -0.5, v[84:85]
	v_add_f64 v[84:85], v[84:85], v[96:97]
	v_fma_f64 v[106:107], v[106:107], -0.5, v[86:87]
	v_add_f64 v[86:87], v[86:87], v[98:99]
	v_add_f64 v[98:99], v[98:99], -v[102:103]
	v_add_f64 v[84:85], v[84:85], v[100:101]
	v_add_f64 v[86:87], v[86:87], v[102:103]
	v_add_f64 v[102:103], v[96:97], -v[100:101]
	v_fma_f64 v[96:97], v[98:99], s[0:1], v[104:105]
	v_fma_f64 v[100:101], v[98:99], s[2:3], v[104:105]
	v_fma_f64 v[98:99], v[102:103], s[2:3], v[106:107]
	v_fma_f64 v[102:103], v[102:103], s[0:1], v[106:107]
	ds_read_b128 v[104:107], v138 offset:6048
	ds_read_b128 v[108:111], v138 offset:7056
	s_waitcnt lgkmcnt(0)
	s_waitcnt_vscnt null, 0x0
	s_barrier
	buffer_gl0_inv
	ds_write_b128 v5, v[30:33]
	ds_write_b128 v5, v[38:41] offset:144
	buffer_store_dword v5, off, s[28:31], 0 offset:1424 ; 4-byte Folded Spill
	ds_write_b128 v5, v[42:45] offset:288
	v_mov_b32_e32 v5, 27
	v_mul_u32_u24_sdwa v6, v7, v5 dst_sel:DWORD dst_unused:UNUSED_PAD src0_sel:WORD_0 src1_sel:DWORD
	v_mul_lo_u16 v7, v9, 19
	v_add_lshl_u32 v6, v6, v10, 4
	ds_write_b128 v6, v[34:37]
	ds_write_b128 v6, v[46:49] offset:144
	v_fma_f64 v[245:246], v[245:246], -0.5, v[106:107]
	v_add_f64 v[106:107], v[106:107], v[114:115]
	v_fma_f64 v[243:244], v[243:244], -0.5, v[104:105]
	v_add_f64 v[104:105], v[104:105], v[112:113]
	v_add_f64 v[114:115], v[114:115], -v[118:119]
	buffer_store_dword v6, off, s[28:31], 0 offset:1420 ; 4-byte Folded Spill
	ds_write_b128 v6, v[50:53] offset:288
	v_mul_u32_u24_sdwa v6, v11, v5 dst_sel:DWORD dst_unused:UNUSED_PAD src0_sel:WORD_0 src1_sel:DWORD
	v_mul_u32_u24_sdwa v5, v13, v5 dst_sel:DWORD dst_unused:UNUSED_PAD src0_sel:WORD_0 src1_sel:DWORD
	v_lshrrev_b16 v7, 9, v7
	v_add_lshl_u32 v6, v6, v12, 4
	v_add_lshl_u32 v5, v5, v14, 4
	ds_write_b128 v6, v[54:57]
	ds_write_b128 v6, v[62:65] offset:144
	buffer_store_dword v6, off, s[28:31], 0 offset:1384 ; 4-byte Folded Spill
	ds_write_b128 v6, v[68:71] offset:288
	ds_write_b128 v5, v[58:61]
	ds_write_b128 v5, v[72:75] offset:144
	buffer_store_dword v5, off, s[28:31], 0 offset:1232 ; 4-byte Folded Spill
	ds_write_b128 v5, v[76:79] offset:288
	v_add_f64 v[106:107], v[106:107], v[118:119]
	v_add_f64 v[118:119], v[112:113], -v[116:117]
	v_add_f64 v[104:105], v[104:105], v[116:117]
	v_fma_f64 v[112:113], v[114:115], s[0:1], v[243:244]
	v_fma_f64 v[116:117], v[114:115], s[2:3], v[243:244]
	v_add_f64 v[243:244], v[120:121], v[124:125]
	v_mad_u16 v5, v15, 27, v17
	v_mul_lo_u16 v9, v7, 27
	v_mov_b32_e32 v60, 0x2f69
	v_lshlrev_b32_sdwa v5, v66, v5 dst_sel:DWORD dst_unused:UNUSED_PAD src0_sel:DWORD src1_sel:WORD_0
	ds_write_b128 v5, v[80:83]
	ds_write_b128 v5, v[88:91] offset:144
	buffer_store_dword v5, off, s[28:31], 0 offset:1236 ; 4-byte Folded Spill
	ds_write_b128 v5, v[92:95] offset:288
	v_mad_u16 v5, v18, 27, v19
	v_sub_nc_u16 v9, v27, v9
	v_fma_f64 v[114:115], v[118:119], s[2:3], v[245:246]
	v_fma_f64 v[118:119], v[118:119], s[0:1], v[245:246]
	v_add_f64 v[245:246], v[122:123], v[126:127]
	v_lshlrev_b32_sdwa v5, v66, v5 dst_sel:DWORD dst_unused:UNUSED_PAD src0_sel:DWORD src1_sel:WORD_0
	v_fma_f64 v[243:244], v[243:244], -0.5, v[108:109]
	v_add_f64 v[108:109], v[108:109], v[120:121]
	ds_write_b128 v5, v[84:87]
	ds_write_b128 v5, v[96:99] offset:144
	buffer_store_dword v5, off, s[28:31], 0 offset:1256 ; 4-byte Folded Spill
	ds_write_b128 v5, v[100:103] offset:288
	v_mad_u16 v5, v20, 27, v21
	v_and_b32_e32 v9, 0xff, v9
	v_lshlrev_b32_sdwa v5, v66, v5 dst_sel:DWORD dst_unused:UNUSED_PAD src0_sel:DWORD src1_sel:WORD_0
	ds_write_b128 v5, v[104:107]
	ds_write_b128 v5, v[112:115] offset:144
	buffer_store_dword v5, off, s[28:31], 0 offset:1276 ; 4-byte Folded Spill
	ds_write_b128 v5, v[116:119] offset:288
	v_fma_f64 v[245:246], v[245:246], -0.5, v[110:111]
	v_add_f64 v[110:111], v[110:111], v[122:123]
	v_add_f64 v[122:123], v[122:123], -v[126:127]
	v_add_f64 v[108:109], v[108:109], v[124:125]
	v_mad_u16 v5, v28, 27, v29
	v_lshlrev_b32_sdwa v5, v66, v5 dst_sel:DWORD dst_unused:UNUSED_PAD src0_sel:DWORD src1_sel:WORD_0
	v_add_f64 v[110:111], v[110:111], v[126:127]
	v_add_f64 v[126:127], v[120:121], -v[124:125]
	v_fma_f64 v[120:121], v[122:123], s[0:1], v[243:244]
	v_fma_f64 v[124:125], v[122:123], s[2:3], v[243:244]
	v_add_f64 v[243:244], v[128:129], v[237:238]
	v_fma_f64 v[122:123], v[126:127], s[2:3], v[245:246]
	v_fma_f64 v[126:127], v[126:127], s[0:1], v[245:246]
	v_add_f64 v[245:246], v[130:131], v[241:242]
	v_fma_f64 v[243:244], v[243:244], -0.5, v[0:1]
	v_add_f64 v[0:1], v[0:1], v[128:129]
	ds_write_b128 v5, v[108:111]
	ds_write_b128 v5, v[120:123] offset:144
	buffer_store_dword v5, off, s[28:31], 0 offset:1280 ; 4-byte Folded Spill
	ds_write_b128 v5, v[124:127] offset:288
	v_fma_f64 v[245:246], v[245:246], -0.5, v[2:3]
	v_add_f64 v[2:3], v[2:3], v[130:131]
	v_add_f64 v[130:131], v[130:131], -v[241:242]
	v_add_f64 v[0:1], v[0:1], v[237:238]
	v_add_f64 v[237:238], v[128:129], -v[237:238]
	v_mad_u16 v5, v136, 27, v137
	v_lshlrev_b32_sdwa v5, v66, v5 dst_sel:DWORD dst_unused:UNUSED_PAD src0_sel:DWORD src1_sel:WORD_0
	v_add_f64 v[2:3], v[2:3], v[241:242]
	v_fma_f64 v[128:129], v[130:131], s[0:1], v[243:244]
	v_fma_f64 v[241:242], v[130:131], s[2:3], v[243:244]
	;; [unrolled: 1-line block ×4, first 2 shown]
	ds_write_b128 v5, v[0:3]
	ds_write_b128 v5, v[128:131] offset:144
	v_mul_lo_u16 v0, v236, 19
	buffer_store_dword v5, off, s[28:31], 0 offset:1284 ; 4-byte Folded Spill
	ds_write_b128 v5, v[241:244] offset:288
	s_waitcnt lgkmcnt(0)
	s_waitcnt_vscnt null, 0x0
	s_barrier
	v_lshrrev_b16 v5, 9, v0
	buffer_gl0_inv
	v_mul_lo_u16 v0, v5, 27
	v_mul_lo_u16 v5, 0x51, v5
	v_sub_nc_u16 v0, v240, v0
	v_and_b32_e32 v5, 0xff, v5
	v_and_b32_e32 v6, 0xff, v0
	v_lshlrev_b32_e32 v0, 5, v6
	s_clause 0x1
	global_load_dwordx4 v[17:20], v0, s[14:15] offset:384
	global_load_dwordx4 v[28:31], v0, s[14:15] offset:400
	ds_read_b128 v[10:13], v138 offset:9072
	ds_read_b128 v[0:3], v138 offset:8064
	v_add_lshl_u32 v5, v5, v6, 4
	s_waitcnt vmcnt(1) lgkmcnt(1)
	v_mul_f64 v[14:15], v[12:13], v[19:20]
	v_fma_f64 v[44:45], v[10:11], v[17:18], -v[14:15]
	v_mul_f64 v[10:11], v[10:11], v[19:20]
	buffer_store_dword v17, off, s[28:31], 0 offset:1104 ; 4-byte Folded Spill
	buffer_store_dword v18, off, s[28:31], 0 offset:1108 ; 4-byte Folded Spill
	;; [unrolled: 1-line block ×4, first 2 shown]
	v_fma_f64 v[46:47], v[12:13], v[17:18], v[10:11]
	ds_read_b128 v[10:13], v138 offset:18144
	ds_read_b128 v[17:20], v138 offset:19152
	s_waitcnt vmcnt(0) lgkmcnt(1)
	v_mul_f64 v[14:15], v[12:13], v[30:31]
	v_fma_f64 v[48:49], v[10:11], v[28:29], -v[14:15]
	v_mul_f64 v[10:11], v[10:11], v[30:31]
	buffer_store_dword v28, off, s[28:31], 0 offset:1120 ; 4-byte Folded Spill
	buffer_store_dword v29, off, s[28:31], 0 offset:1124 ; 4-byte Folded Spill
	;; [unrolled: 1-line block ×4, first 2 shown]
	v_fma_f64 v[50:51], v[12:13], v[28:29], v[10:11]
	v_lshlrev_b32_e32 v10, 5, v9
	s_clause 0x1
	global_load_dwordx4 v[36:39], v10, s[14:15] offset:384
	global_load_dwordx4 v[32:35], v10, s[14:15] offset:400
	ds_read_b128 v[10:13], v138 offset:10080
	ds_read_b128 v[28:31], v138 offset:11088
	s_waitcnt vmcnt(1) lgkmcnt(1)
	v_mul_f64 v[14:15], v[12:13], v[38:39]
	v_fma_f64 v[52:53], v[10:11], v[36:37], -v[14:15]
	v_mul_f64 v[10:11], v[10:11], v[38:39]
	buffer_store_dword v36, off, s[28:31], 0 offset:1168 ; 4-byte Folded Spill
	buffer_store_dword v37, off, s[28:31], 0 offset:1172 ; 4-byte Folded Spill
	;; [unrolled: 1-line block ×4, first 2 shown]
	v_fma_f64 v[54:55], v[12:13], v[36:37], v[10:11]
	s_waitcnt vmcnt(0)
	v_mul_f64 v[10:11], v[19:20], v[34:35]
	v_fma_f64 v[56:57], v[17:18], v[32:33], -v[10:11]
	v_mul_f64 v[10:11], v[17:18], v[34:35]
	buffer_store_dword v32, off, s[28:31], 0 offset:1136 ; 4-byte Folded Spill
	buffer_store_dword v33, off, s[28:31], 0 offset:1140 ; 4-byte Folded Spill
	;; [unrolled: 1-line block ×4, first 2 shown]
	v_fma_f64 v[58:59], v[19:20], v[32:33], v[10:11]
	v_mul_lo_u16 v10, v8, 19
	v_lshrrev_b16 v10, 9, v10
	v_mul_lo_u16 v11, v10, 27
	v_sub_nc_u16 v11, v26, v11
	v_and_b32_e32 v11, 0xff, v11
	v_lshlrev_b32_e32 v12, 5, v11
	s_clause 0x1
	global_load_dwordx4 v[17:20], v12, s[14:15] offset:384
	global_load_dwordx4 v[32:35], v12, s[14:15] offset:400
	s_waitcnt vmcnt(1) lgkmcnt(0)
	v_mul_f64 v[12:13], v[30:31], v[19:20]
	v_fma_f64 v[61:62], v[28:29], v[17:18], -v[12:13]
	v_mul_f64 v[12:13], v[28:29], v[19:20]
	buffer_store_dword v17, off, s[28:31], 0 offset:1184 ; 4-byte Folded Spill
	buffer_store_dword v18, off, s[28:31], 0 offset:1188 ; 4-byte Folded Spill
	;; [unrolled: 1-line block ×4, first 2 shown]
	v_fma_f64 v[63:64], v[30:31], v[17:18], v[12:13]
	ds_read_b128 v[12:15], v138 offset:20160
	ds_read_b128 v[17:20], v138 offset:21168
	s_waitcnt vmcnt(0) lgkmcnt(1)
	v_mul_f64 v[28:29], v[14:15], v[34:35]
	v_fma_f64 v[68:69], v[12:13], v[32:33], -v[28:29]
	v_mul_f64 v[12:13], v[12:13], v[34:35]
	buffer_store_dword v32, off, s[28:31], 0 offset:1152 ; 4-byte Folded Spill
	buffer_store_dword v33, off, s[28:31], 0 offset:1156 ; 4-byte Folded Spill
	;; [unrolled: 1-line block ×4, first 2 shown]
	v_fma_f64 v[70:71], v[14:15], v[32:33], v[12:13]
	v_mul_lo_u16 v12, v4, 19
	v_mul_lo_u16 v4, 0xcb, v4
	v_lshrrev_b16 v12, 9, v12
	v_mul_lo_u16 v13, v12, 27
	v_sub_nc_u16 v13, v139, v13
	v_and_b32_e32 v13, 0xff, v13
	v_lshlrev_b32_e32 v14, 5, v13
	s_clause 0x1
	global_load_dwordx4 v[36:39], v14, s[14:15] offset:384
	global_load_dwordx4 v[40:43], v14, s[14:15] offset:400
	ds_read_b128 v[28:31], v138 offset:12096
	ds_read_b128 v[32:35], v138 offset:13104
	s_waitcnt vmcnt(1) lgkmcnt(1)
	v_mul_f64 v[14:15], v[30:31], v[38:39]
	v_fma_f64 v[72:73], v[28:29], v[36:37], -v[14:15]
	v_mul_f64 v[14:15], v[28:29], v[38:39]
	buffer_store_dword v36, off, s[28:31], 0 offset:1200 ; 4-byte Folded Spill
	buffer_store_dword v37, off, s[28:31], 0 offset:1204 ; 4-byte Folded Spill
	buffer_store_dword v38, off, s[28:31], 0 offset:1208 ; 4-byte Folded Spill
	buffer_store_dword v39, off, s[28:31], 0 offset:1212 ; 4-byte Folded Spill
	v_fma_f64 v[74:75], v[30:31], v[36:37], v[14:15]
	s_waitcnt vmcnt(0)
	v_mul_f64 v[14:15], v[19:20], v[42:43]
	v_fma_f64 v[76:77], v[17:18], v[40:41], -v[14:15]
	v_mul_f64 v[14:15], v[17:18], v[42:43]
	buffer_store_dword v40, off, s[28:31], 0 offset:1216 ; 4-byte Folded Spill
	buffer_store_dword v41, off, s[28:31], 0 offset:1220 ; 4-byte Folded Spill
	;; [unrolled: 1-line block ×4, first 2 shown]
	v_fma_f64 v[78:79], v[19:20], v[40:41], v[14:15]
	v_mul_u32_u24_sdwa v14, v25, v60 dst_sel:DWORD dst_unused:UNUSED_PAD src0_sel:WORD_0 src1_sel:DWORD
	v_lshrrev_b32_e32 v14, 16, v14
	v_sub_nc_u16 v15, v25, v14
	v_lshrrev_b16 v15, 1, v15
	v_add_nc_u16 v14, v15, v14
	v_lshrrev_b16 v14, 4, v14
	v_mul_lo_u16 v15, v14, 27
	v_sub_nc_u16 v15, v25, v15
	v_lshlrev_b16 v17, 5, v15
	v_and_b32_e32 v17, 0xffff, v17
	v_add_co_u32 v17, s6, s14, v17
	v_add_co_ci_u32_e64 v18, null, s15, 0, s6
	s_clause 0x1
	global_load_dwordx4 v[28:31], v[17:18], off offset:384
	global_load_dwordx4 v[36:39], v[17:18], off offset:400
	s_waitcnt vmcnt(1) lgkmcnt(0)
	v_mul_f64 v[17:18], v[34:35], v[30:31]
	v_fma_f64 v[88:89], v[32:33], v[28:29], -v[17:18]
	v_mul_f64 v[17:18], v[32:33], v[30:31]
	buffer_store_dword v28, off, s[28:31], 0 offset:1240 ; 4-byte Folded Spill
	buffer_store_dword v29, off, s[28:31], 0 offset:1244 ; 4-byte Folded Spill
	;; [unrolled: 1-line block ×4, first 2 shown]
	v_fma_f64 v[90:91], v[34:35], v[28:29], v[17:18]
	ds_read_b128 v[17:20], v138 offset:22176
	ds_read_b128 v[28:31], v138 offset:23184
	s_waitcnt vmcnt(0) lgkmcnt(1)
	v_mul_f64 v[32:33], v[19:20], v[38:39]
	v_fma_f64 v[92:93], v[17:18], v[36:37], -v[32:33]
	v_mul_f64 v[17:18], v[17:18], v[38:39]
	buffer_store_dword v36, off, s[28:31], 0 offset:1260 ; 4-byte Folded Spill
	buffer_store_dword v37, off, s[28:31], 0 offset:1264 ; 4-byte Folded Spill
	;; [unrolled: 1-line block ×4, first 2 shown]
	v_add_f64 v[104:105], v[88:89], v[92:93]
	v_fma_f64 v[94:95], v[19:20], v[36:37], v[17:18]
	v_mul_u32_u24_sdwa v17, v24, v60 dst_sel:DWORD dst_unused:UNUSED_PAD src0_sel:WORD_0 src1_sel:DWORD
	v_lshrrev_b32_e32 v17, 16, v17
	v_sub_nc_u16 v18, v24, v17
	v_lshrrev_b16 v18, 1, v18
	v_add_nc_u16 v17, v18, v17
	v_add_f64 v[106:107], v[90:91], v[94:95]
	v_lshrrev_b16 v17, 4, v17
	v_mul_lo_u16 v18, v17, 27
	v_sub_nc_u16 v18, v24, v18
	v_lshlrev_b16 v19, 5, v18
	v_and_b32_e32 v19, 0xffff, v19
	v_add_co_u32 v19, s6, s14, v19
	v_add_co_ci_u32_e64 v20, null, s15, 0, s6
	s_clause 0x1
	global_load_dwordx4 v[80:83], v[19:20], off offset:384
	global_load_dwordx4 v[40:43], v[19:20], off offset:400
	ds_read_b128 v[32:35], v138 offset:14112
	ds_read_b128 v[36:39], v138 offset:15120
	s_waitcnt vmcnt(1) lgkmcnt(1)
	v_mul_f64 v[19:20], v[34:35], v[82:83]
	v_fma_f64 v[96:97], v[32:33], v[80:81], -v[19:20]
	v_mul_f64 v[19:20], v[32:33], v[82:83]
	buffer_store_dword v80, off, s[28:31], 0 offset:1304 ; 4-byte Folded Spill
	buffer_store_dword v81, off, s[28:31], 0 offset:1308 ; 4-byte Folded Spill
	;; [unrolled: 1-line block ×4, first 2 shown]
	v_fma_f64 v[98:99], v[34:35], v[80:81], v[19:20]
	s_waitcnt vmcnt(0)
	v_mul_f64 v[19:20], v[30:31], v[42:43]
	v_fma_f64 v[100:101], v[28:29], v[40:41], -v[19:20]
	v_mul_f64 v[19:20], v[28:29], v[42:43]
	buffer_store_dword v40, off, s[28:31], 0 offset:1288 ; 4-byte Folded Spill
	buffer_store_dword v41, off, s[28:31], 0 offset:1292 ; 4-byte Folded Spill
	;; [unrolled: 1-line block ×4, first 2 shown]
	v_fma_f64 v[102:103], v[30:31], v[40:41], v[19:20]
	v_mul_u32_u24_sdwa v19, v23, v60 dst_sel:DWORD dst_unused:UNUSED_PAD src0_sel:WORD_0 src1_sel:DWORD
	v_lshrrev_b32_e32 v19, 16, v19
	v_sub_nc_u16 v20, v23, v19
	v_lshrrev_b16 v20, 1, v20
	v_add_nc_u16 v19, v20, v19
	v_lshrrev_b16 v19, 4, v19
	v_mul_lo_u16 v20, v19, 27
	v_sub_nc_u16 v20, v23, v20
	v_lshlrev_b16 v21, 5, v20
	v_and_b32_e32 v21, 0xffff, v21
	v_add_co_u32 v28, s6, s14, v21
	v_add_co_ci_u32_e64 v29, null, s15, 0, s6
	s_clause 0x1
	global_load_dwordx4 v[30:33], v[28:29], off offset:384
	global_load_dwordx4 v[40:43], v[28:29], off offset:400
	v_mul_u32_u24_sdwa v21, v22, v60 dst_sel:DWORD dst_unused:UNUSED_PAD src0_sel:WORD_0 src1_sel:DWORD
	v_lshrrev_b32_e32 v21, 16, v21
	s_waitcnt vmcnt(1) lgkmcnt(0)
	v_mul_f64 v[28:29], v[38:39], v[32:33]
	v_fma_f64 v[112:113], v[36:37], v[30:31], -v[28:29]
	v_mul_f64 v[28:29], v[36:37], v[32:33]
	buffer_store_dword v30, off, s[28:31], 0 offset:1336 ; 4-byte Folded Spill
	buffer_store_dword v31, off, s[28:31], 0 offset:1340 ; 4-byte Folded Spill
	;; [unrolled: 1-line block ×4, first 2 shown]
	v_fma_f64 v[114:115], v[38:39], v[30:31], v[28:29]
	ds_read_b128 v[28:31], v138 offset:24192
	ds_read_b128 v[32:35], v138 offset:25200
	s_waitcnt vmcnt(0) lgkmcnt(1)
	v_mul_f64 v[36:37], v[30:31], v[42:43]
	v_fma_f64 v[116:117], v[28:29], v[40:41], -v[36:37]
	v_mul_f64 v[28:29], v[28:29], v[42:43]
	buffer_store_dword v40, off, s[28:31], 0 offset:1320 ; 4-byte Folded Spill
	buffer_store_dword v41, off, s[28:31], 0 offset:1324 ; 4-byte Folded Spill
	;; [unrolled: 1-line block ×4, first 2 shown]
	v_add_f64 v[241:242], v[112:113], v[116:117]
	v_fma_f64 v[118:119], v[30:31], v[40:41], v[28:29]
	v_sub_nc_u16 v28, v22, v21
	v_lshrrev_b16 v28, 1, v28
	v_add_nc_u16 v21, v28, v21
	v_lshrrev_b16 v21, 4, v21
	v_mul_lo_u16 v28, v21, 27
	v_add_f64 v[243:244], v[114:115], v[118:119]
	v_sub_nc_u16 v28, v22, v28
	v_lshlrev_b16 v29, 5, v28
	v_and_b32_e32 v29, 0xffff, v29
	v_add_co_u32 v29, s6, s14, v29
	v_add_co_ci_u32_e64 v30, null, s15, 0, s6
	s_clause 0x1
	global_load_dwordx4 v[80:83], v[29:30], off offset:384
	global_load_dwordx4 v[84:87], v[29:30], off offset:400
	ds_read_b128 v[36:39], v138 offset:16128
	ds_read_b128 v[40:43], v138 offset:17136
	s_waitcnt vmcnt(1) lgkmcnt(1)
	v_mul_f64 v[29:30], v[38:39], v[82:83]
	v_fma_f64 v[120:121], v[36:37], v[80:81], -v[29:30]
	v_mul_f64 v[29:30], v[36:37], v[82:83]
	buffer_store_dword v80, off, s[28:31], 0 offset:1352 ; 4-byte Folded Spill
	buffer_store_dword v81, off, s[28:31], 0 offset:1356 ; 4-byte Folded Spill
	;; [unrolled: 1-line block ×4, first 2 shown]
	v_add_f64 v[82:83], v[63:64], v[70:71]
	v_fma_f64 v[122:123], v[38:39], v[80:81], v[29:30]
	s_waitcnt vmcnt(0)
	v_mul_f64 v[29:30], v[34:35], v[86:87]
	v_fma_f64 v[124:125], v[32:33], v[84:85], -v[29:30]
	v_mul_f64 v[29:30], v[32:33], v[86:87]
	buffer_store_dword v84, off, s[28:31], 0 offset:1368 ; 4-byte Folded Spill
	buffer_store_dword v85, off, s[28:31], 0 offset:1372 ; 4-byte Folded Spill
	;; [unrolled: 1-line block ×4, first 2 shown]
	v_fma_f64 v[126:127], v[34:35], v[84:85], v[29:30]
	v_mul_u32_u24_sdwa v29, v16, v60 dst_sel:DWORD dst_unused:UNUSED_PAD src0_sel:WORD_0 src1_sel:DWORD
	v_lshrrev_b32_e32 v29, 16, v29
	v_sub_nc_u16 v30, v16, v29
	v_lshrrev_b16 v30, 1, v30
	v_add_nc_u16 v29, v30, v29
	v_lshrrev_b16 v65, 4, v29
	v_mul_lo_u16 v29, v65, 27
	v_sub_nc_u16 v136, v16, v29
	v_lshlrev_b16 v29, 5, v136
	v_and_b32_e32 v29, 0xffff, v29
	v_add_co_u32 v29, s6, s14, v29
	v_add_co_ci_u32_e64 v30, null, s15, 0, s6
	s_clause 0x1
	global_load_dwordx4 v[31:34], v[29:30], off offset:384
	global_load_dwordx4 v[35:38], v[29:30], off offset:400
	s_waitcnt vmcnt(1) lgkmcnt(0)
	v_mul_f64 v[29:30], v[42:43], v[33:34]
	v_fma_f64 v[128:129], v[40:41], v[31:32], -v[29:30]
	v_mul_f64 v[29:30], v[40:41], v[33:34]
	buffer_store_dword v31, off, s[28:31], 0 offset:1388 ; 4-byte Folded Spill
	buffer_store_dword v32, off, s[28:31], 0 offset:1392 ; 4-byte Folded Spill
	;; [unrolled: 1-line block ×4, first 2 shown]
	v_fma_f64 v[130:131], v[42:43], v[31:32], v[29:30]
	ds_read_b128 v[29:32], v138 offset:26208
	v_add_f64 v[41:42], v[46:47], -v[50:51]
	s_waitcnt vmcnt(0) lgkmcnt(0)
	v_mul_f64 v[33:34], v[31:32], v[37:38]
	v_fma_f64 v[236:237], v[29:30], v[35:36], -v[33:34]
	v_mul_f64 v[29:30], v[29:30], v[37:38]
	buffer_store_dword v35, off, s[28:31], 0 offset:1404 ; 4-byte Folded Spill
	buffer_store_dword v36, off, s[28:31], 0 offset:1408 ; 4-byte Folded Spill
	;; [unrolled: 1-line block ×4, first 2 shown]
	v_add_f64 v[37:38], v[44:45], v[48:49]
	v_fma_f64 v[238:239], v[31:32], v[35:36], v[29:30]
	ds_read_b128 v[29:32], v138
	ds_read_b128 v[33:36], v138 offset:1008
	s_waitcnt lgkmcnt(1)
	v_fma_f64 v[39:40], v[37:38], -0.5, v[29:30]
	v_add_f64 v[37:38], v[46:47], v[50:51]
	v_add_f64 v[29:30], v[29:30], v[44:45]
	v_add_f64 v[43:44], v[44:45], -v[48:49]
	v_fma_f64 v[80:81], v[37:38], -0.5, v[31:32]
	v_add_f64 v[31:32], v[31:32], v[46:47]
	v_add_f64 v[45:46], v[52:53], v[56:57]
	;; [unrolled: 1-line block ×3, first 2 shown]
	v_fma_f64 v[37:38], v[41:42], s[0:1], v[39:40]
	v_fma_f64 v[41:42], v[41:42], s[2:3], v[39:40]
	;; [unrolled: 1-line block ×4, first 2 shown]
	s_waitcnt lgkmcnt(0)
	v_fma_f64 v[47:48], v[45:46], -0.5, v[33:34]
	v_add_f64 v[45:46], v[54:55], v[58:59]
	v_add_f64 v[33:34], v[33:34], v[52:53]
	;; [unrolled: 1-line block ×3, first 2 shown]
	v_add_f64 v[49:50], v[54:55], -v[58:59]
	v_add_f64 v[51:52], v[52:53], -v[56:57]
	v_fma_f64 v[80:81], v[45:46], -0.5, v[35:36]
	v_add_f64 v[35:36], v[35:36], v[54:55]
	v_add_f64 v[33:34], v[33:34], v[56:57]
	v_fma_f64 v[45:46], v[49:50], s[0:1], v[47:48]
	v_fma_f64 v[49:50], v[49:50], s[2:3], v[47:48]
	;; [unrolled: 1-line block ×3, first 2 shown]
	v_add_f64 v[35:36], v[35:36], v[58:59]
	ds_read_b128 v[53:56], v138 offset:2016
	ds_read_b128 v[57:60], v138 offset:3024
	v_fma_f64 v[51:52], v[51:52], s[0:1], v[80:81]
	v_add_f64 v[80:81], v[61:62], v[68:69]
	s_waitcnt lgkmcnt(1)
	v_fma_f64 v[82:83], v[82:83], -0.5, v[55:56]
	v_add_f64 v[55:56], v[55:56], v[63:64]
	v_add_f64 v[63:64], v[63:64], -v[70:71]
	v_fma_f64 v[80:81], v[80:81], -0.5, v[53:54]
	v_add_f64 v[53:54], v[53:54], v[61:62]
	v_add_f64 v[55:56], v[55:56], v[70:71]
	v_add_f64 v[70:71], v[61:62], -v[68:69]
	v_fma_f64 v[61:62], v[63:64], s[0:1], v[80:81]
	v_add_f64 v[53:54], v[53:54], v[68:69]
	v_fma_f64 v[68:69], v[63:64], s[2:3], v[80:81]
	v_add_f64 v[80:81], v[72:73], v[76:77]
	v_fma_f64 v[63:64], v[70:71], s[2:3], v[82:83]
	v_fma_f64 v[70:71], v[70:71], s[0:1], v[82:83]
	v_add_f64 v[82:83], v[74:75], v[78:79]
	s_waitcnt lgkmcnt(0)
	v_fma_f64 v[80:81], v[80:81], -0.5, v[57:58]
	v_add_f64 v[57:58], v[57:58], v[72:73]
	v_fma_f64 v[82:83], v[82:83], -0.5, v[59:60]
	v_add_f64 v[59:60], v[59:60], v[74:75]
	v_add_f64 v[74:75], v[74:75], -v[78:79]
	v_add_f64 v[57:58], v[57:58], v[76:77]
	v_add_f64 v[59:60], v[59:60], v[78:79]
	v_add_f64 v[78:79], v[72:73], -v[76:77]
	v_fma_f64 v[72:73], v[74:75], s[0:1], v[80:81]
	v_fma_f64 v[76:77], v[74:75], s[2:3], v[80:81]
	v_fma_f64 v[74:75], v[78:79], s[2:3], v[82:83]
	v_fma_f64 v[78:79], v[78:79], s[0:1], v[82:83]
	ds_read_b128 v[80:83], v138 offset:4032
	ds_read_b128 v[84:87], v138 offset:5040
	s_waitcnt lgkmcnt(1)
	v_fma_f64 v[106:107], v[106:107], -0.5, v[82:83]
	v_add_f64 v[82:83], v[82:83], v[90:91]
	v_fma_f64 v[104:105], v[104:105], -0.5, v[80:81]
	v_add_f64 v[80:81], v[80:81], v[88:89]
	v_add_f64 v[90:91], v[90:91], -v[94:95]
	v_add_f64 v[82:83], v[82:83], v[94:95]
	v_add_f64 v[94:95], v[88:89], -v[92:93]
	v_add_f64 v[80:81], v[80:81], v[92:93]
	v_fma_f64 v[88:89], v[90:91], s[0:1], v[104:105]
	v_fma_f64 v[92:93], v[90:91], s[2:3], v[104:105]
	v_add_f64 v[104:105], v[96:97], v[100:101]
	v_fma_f64 v[90:91], v[94:95], s[2:3], v[106:107]
	v_fma_f64 v[94:95], v[94:95], s[0:1], v[106:107]
	v_add_f64 v[106:107], v[98:99], v[102:103]
	s_waitcnt lgkmcnt(0)
	v_fma_f64 v[104:105], v[104:105], -0.5, v[84:85]
	v_add_f64 v[84:85], v[84:85], v[96:97]
	v_fma_f64 v[106:107], v[106:107], -0.5, v[86:87]
	v_add_f64 v[86:87], v[86:87], v[98:99]
	v_add_f64 v[98:99], v[98:99], -v[102:103]
	v_add_f64 v[84:85], v[84:85], v[100:101]
	v_add_f64 v[86:87], v[86:87], v[102:103]
	v_add_f64 v[102:103], v[96:97], -v[100:101]
	v_fma_f64 v[96:97], v[98:99], s[0:1], v[104:105]
	v_fma_f64 v[100:101], v[98:99], s[2:3], v[104:105]
	;; [unrolled: 1-line block ×4, first 2 shown]
	ds_read_b128 v[104:107], v138 offset:6048
	ds_read_b128 v[108:111], v138 offset:7056
	s_waitcnt lgkmcnt(0)
	s_waitcnt_vscnt null, 0x0
	s_barrier
	buffer_gl0_inv
	ds_write_b128 v5, v[29:32]
	ds_write_b128 v5, v[37:40] offset:432
	buffer_store_dword v5, off, s[28:31], 0 offset:844 ; 4-byte Folded Spill
	ds_write_b128 v5, v[41:44] offset:864
	v_mov_b32_e32 v5, 0x51
	v_mul_u32_u24_sdwa v6, v7, v5 dst_sel:DWORD dst_unused:UNUSED_PAD src0_sel:WORD_0 src1_sel:DWORD
	v_add_lshl_u32 v6, v6, v9, 4
	ds_write_b128 v6, v[33:36]
	ds_write_b128 v6, v[45:48] offset:432
	v_fma_f64 v[243:244], v[243:244], -0.5, v[106:107]
	v_add_f64 v[106:107], v[106:107], v[114:115]
	v_fma_f64 v[241:242], v[241:242], -0.5, v[104:105]
	v_add_f64 v[104:105], v[104:105], v[112:113]
	v_add_f64 v[114:115], v[114:115], -v[118:119]
	buffer_store_dword v6, off, s[28:31], 0 offset:848 ; 4-byte Folded Spill
	ds_write_b128 v6, v[49:52] offset:864
	v_mul_u32_u24_sdwa v6, v10, v5 dst_sel:DWORD dst_unused:UNUSED_PAD src0_sel:WORD_0 src1_sel:DWORD
	v_mul_u32_u24_sdwa v5, v12, v5 dst_sel:DWORD dst_unused:UNUSED_PAD src0_sel:WORD_0 src1_sel:DWORD
	v_add_lshl_u32 v6, v6, v11, 4
	v_add_lshl_u32 v5, v5, v13, 4
	ds_write_b128 v6, v[53:56]
	ds_write_b128 v6, v[61:64] offset:432
	buffer_store_dword v6, off, s[28:31], 0 offset:868 ; 4-byte Folded Spill
	ds_write_b128 v6, v[68:71] offset:864
	ds_write_b128 v5, v[57:60]
	ds_write_b128 v5, v[72:75] offset:432
	buffer_store_dword v5, off, s[28:31], 0 offset:888 ; 4-byte Folded Spill
	ds_write_b128 v5, v[76:79] offset:864
	v_add_f64 v[106:107], v[106:107], v[118:119]
	v_add_f64 v[118:119], v[112:113], -v[116:117]
	v_add_f64 v[104:105], v[104:105], v[116:117]
	v_fma_f64 v[112:113], v[114:115], s[0:1], v[241:242]
	v_fma_f64 v[116:117], v[114:115], s[2:3], v[241:242]
	v_add_f64 v[241:242], v[120:121], v[124:125]
	v_mad_u16 v5, 0x51, v14, v15
	v_lshlrev_b32_sdwa v5, v66, v5 dst_sel:DWORD dst_unused:UNUSED_PAD src0_sel:DWORD src1_sel:WORD_0
	ds_write_b128 v5, v[80:83]
	ds_write_b128 v5, v[88:91] offset:432
	buffer_store_dword v5, off, s[28:31], 0 offset:892 ; 4-byte Folded Spill
	ds_write_b128 v5, v[92:95] offset:864
	v_mad_u16 v5, 0x51, v17, v18
	v_fma_f64 v[114:115], v[118:119], s[2:3], v[243:244]
	v_fma_f64 v[118:119], v[118:119], s[0:1], v[243:244]
	v_add_f64 v[243:244], v[122:123], v[126:127]
	v_lshlrev_b32_sdwa v5, v66, v5 dst_sel:DWORD dst_unused:UNUSED_PAD src0_sel:DWORD src1_sel:WORD_0
	v_fma_f64 v[241:242], v[241:242], -0.5, v[108:109]
	v_add_f64 v[108:109], v[108:109], v[120:121]
	ds_write_b128 v5, v[84:87]
	ds_write_b128 v5, v[96:99] offset:432
	buffer_store_dword v5, off, s[28:31], 0 offset:896 ; 4-byte Folded Spill
	ds_write_b128 v5, v[100:103] offset:864
	v_mad_u16 v5, 0x51, v19, v20
	v_mov_b32_e32 v19, 0x6523
	v_lshlrev_b32_sdwa v5, v66, v5 dst_sel:DWORD dst_unused:UNUSED_PAD src0_sel:DWORD src1_sel:WORD_0
	ds_write_b128 v5, v[104:107]
	ds_write_b128 v5, v[112:115] offset:432
	buffer_store_dword v5, off, s[28:31], 0 offset:900 ; 4-byte Folded Spill
	ds_write_b128 v5, v[116:119] offset:864
	v_fma_f64 v[243:244], v[243:244], -0.5, v[110:111]
	v_add_f64 v[110:111], v[110:111], v[122:123]
	v_add_f64 v[122:123], v[122:123], -v[126:127]
	v_add_f64 v[108:109], v[108:109], v[124:125]
	v_mad_u16 v5, 0x51, v21, v28
	v_lshlrev_b32_sdwa v5, v66, v5 dst_sel:DWORD dst_unused:UNUSED_PAD src0_sel:DWORD src1_sel:WORD_0
	v_add_f64 v[110:111], v[110:111], v[126:127]
	v_add_f64 v[126:127], v[120:121], -v[124:125]
	v_fma_f64 v[120:121], v[122:123], s[0:1], v[241:242]
	v_fma_f64 v[124:125], v[122:123], s[2:3], v[241:242]
	v_add_f64 v[241:242], v[128:129], v[236:237]
	v_fma_f64 v[122:123], v[126:127], s[2:3], v[243:244]
	v_fma_f64 v[126:127], v[126:127], s[0:1], v[243:244]
	v_add_f64 v[243:244], v[130:131], v[238:239]
	v_fma_f64 v[241:242], v[241:242], -0.5, v[0:1]
	v_add_f64 v[0:1], v[0:1], v[128:129]
	ds_write_b128 v5, v[108:111]
	ds_write_b128 v5, v[120:123] offset:432
	buffer_store_dword v5, off, s[28:31], 0 offset:904 ; 4-byte Folded Spill
	ds_write_b128 v5, v[124:127] offset:864
	v_fma_f64 v[243:244], v[243:244], -0.5, v[2:3]
	v_add_f64 v[2:3], v[2:3], v[130:131]
	v_add_f64 v[130:131], v[130:131], -v[238:239]
	v_add_f64 v[0:1], v[0:1], v[236:237]
	v_mad_u16 v5, 0x51, v65, v136
	v_lshlrev_b32_sdwa v5, v66, v5 dst_sel:DWORD dst_unused:UNUSED_PAD src0_sel:DWORD src1_sel:WORD_0
	v_add_f64 v[2:3], v[2:3], v[238:239]
	v_add_f64 v[238:239], v[128:129], -v[236:237]
	v_fma_f64 v[128:129], v[130:131], s[0:1], v[241:242]
	v_fma_f64 v[236:237], v[130:131], s[2:3], v[241:242]
	v_fma_f64 v[130:131], v[238:239], s[2:3], v[243:244]
	v_fma_f64 v[238:239], v[238:239], s[0:1], v[243:244]
	ds_write_b128 v5, v[0:3]
	ds_write_b128 v5, v[128:131] offset:432
	v_lshlrev_b32_e32 v0, 5, v247
	buffer_store_dword v5, off, s[28:31], 0 offset:924 ; 4-byte Folded Spill
	ds_write_b128 v5, v[236:239] offset:864
	s_waitcnt lgkmcnt(0)
	s_waitcnt_vscnt null, 0x0
	s_barrier
	buffer_gl0_inv
	s_clause 0x1
	global_load_dwordx4 v[28:31], v0, s[14:15] offset:1248
	global_load_dwordx4 v[32:35], v0, s[14:15] offset:1264
	ds_read_b128 v[9:12], v138 offset:9072
	ds_read_b128 v[0:3], v138 offset:8064
	s_waitcnt vmcnt(1) lgkmcnt(1)
	v_mul_f64 v[5:6], v[11:12], v[30:31]
	v_fma_f64 v[17:18], v[9:10], v[28:29], -v[5:6]
	v_mul_f64 v[5:6], v[9:10], v[30:31]
	buffer_store_dword v28, off, s[28:31], 0 offset:780 ; 4-byte Folded Spill
	buffer_store_dword v29, off, s[28:31], 0 offset:784 ; 4-byte Folded Spill
	;; [unrolled: 1-line block ×4, first 2 shown]
	v_fma_f64 v[36:37], v[11:12], v[28:29], v[5:6]
	ds_read_b128 v[9:12], v138 offset:18144
	ds_read_b128 v[28:31], v138 offset:19152
	s_waitcnt vmcnt(0) lgkmcnt(1)
	v_mul_f64 v[5:6], v[11:12], v[34:35]
	v_fma_f64 v[38:39], v[9:10], v[32:33], -v[5:6]
	v_mul_f64 v[5:6], v[9:10], v[34:35]
	buffer_store_dword v32, off, s[28:31], 0 offset:796 ; 4-byte Folded Spill
	buffer_store_dword v33, off, s[28:31], 0 offset:800 ; 4-byte Folded Spill
	;; [unrolled: 1-line block ×4, first 2 shown]
	buffer_store_dword v247, off, s[28:31], 0 ; 4-byte Folded Spill
	v_fma_f64 v[40:41], v[11:12], v[32:33], v[5:6]
	v_add_co_u32 v5, s6, 0xffffffee, v247
	v_add_co_ci_u32_e64 v6, null, 0, -1, s6
	v_cndmask_b32_e32 v20, v5, v27, vcc_lo
	v_cndmask_b32_e32 v21, v6, v67, vcc_lo
	v_lshlrev_b64 v[5:6], 5, v[20:21]
	v_add_co_u32 v5, vcc_lo, s14, v5
	v_add_co_ci_u32_e32 v6, vcc_lo, s15, v6, vcc_lo
	s_clause 0x1
	global_load_dwordx4 v[42:45], v[5:6], off offset:1248
	global_load_dwordx4 v[53:56], v[5:6], off offset:1264
	ds_read_b128 v[9:12], v138 offset:10080
	ds_read_b128 v[32:35], v138 offset:11088
	v_cmp_lt_u16_e32 vcc_lo, 17, v240
	s_waitcnt vmcnt(1) lgkmcnt(1)
	v_mul_f64 v[5:6], v[11:12], v[44:45]
	v_fma_f64 v[49:50], v[9:10], v[42:43], -v[5:6]
	v_mul_f64 v[5:6], v[9:10], v[44:45]
	buffer_store_dword v42, off, s[28:31], 0 offset:812 ; 4-byte Folded Spill
	buffer_store_dword v43, off, s[28:31], 0 offset:816 ; 4-byte Folded Spill
	;; [unrolled: 1-line block ×4, first 2 shown]
	v_fma_f64 v[45:46], v[11:12], v[42:43], v[5:6]
	s_waitcnt vmcnt(0)
	v_mul_f64 v[5:6], v[30:31], v[55:56]
	v_fma_f64 v[51:52], v[28:29], v[53:54], -v[5:6]
	v_mul_f64 v[5:6], v[28:29], v[55:56]
	buffer_store_dword v53, off, s[28:31], 0 offset:828 ; 4-byte Folded Spill
	buffer_store_dword v54, off, s[28:31], 0 offset:832 ; 4-byte Folded Spill
	;; [unrolled: 1-line block ×4, first 2 shown]
	v_fma_f64 v[47:48], v[30:31], v[53:54], v[5:6]
	v_mul_lo_u16 v5, 0xcb, v8
	v_lshrrev_b16 v21, 14, v5
	v_mul_lo_u16 v5, 0x51, v21
	v_sub_nc_u16 v5, v26, v5
	v_and_b32_e32 v26, 0xff, v5
	v_lshlrev_b32_e32 v5, 5, v26
	s_clause 0x1
	global_load_dwordx4 v[7:10], v5, s[14:15] offset:1248
	global_load_dwordx4 v[27:30], v5, s[14:15] offset:1264
	s_waitcnt vmcnt(1) lgkmcnt(0)
	v_mul_f64 v[5:6], v[34:35], v[9:10]
	v_fma_f64 v[61:62], v[32:33], v[7:8], -v[5:6]
	v_mul_f64 v[5:6], v[32:33], v[9:10]
	buffer_store_dword v7, off, s[28:31], 0 offset:852 ; 4-byte Folded Spill
	buffer_store_dword v8, off, s[28:31], 0 offset:856 ; 4-byte Folded Spill
	;; [unrolled: 1-line block ×4, first 2 shown]
	v_fma_f64 v[57:58], v[34:35], v[7:8], v[5:6]
	ds_read_b128 v[5:8], v138 offset:20160
	ds_read_b128 v[9:12], v138 offset:21168
	s_waitcnt vmcnt(0) lgkmcnt(1)
	v_mul_f64 v[13:14], v[7:8], v[29:30]
	v_fma_f64 v[63:64], v[5:6], v[27:28], -v[13:14]
	v_mul_f64 v[5:6], v[5:6], v[29:30]
	buffer_store_dword v27, off, s[28:31], 0 offset:872 ; 4-byte Folded Spill
	buffer_store_dword v28, off, s[28:31], 0 offset:876 ; 4-byte Folded Spill
	;; [unrolled: 1-line block ×4, first 2 shown]
	v_fma_f64 v[59:60], v[7:8], v[27:28], v[5:6]
	v_lshrrev_b16 v27, 14, v4
	v_mul_lo_u16 v4, 0x51, v27
	v_sub_nc_u16 v4, v139, v4
	v_and_b32_e32 v28, 0xff, v4
	v_lshlrev_b32_e32 v4, 5, v28
	s_clause 0x1
	global_load_dwordx4 v[53:56], v4, s[14:15] offset:1248
	global_load_dwordx4 v[67:70], v4, s[14:15] offset:1264
	ds_read_b128 v[4:7], v138 offset:12096
	ds_read_b128 v[29:32], v138 offset:13104
	s_waitcnt vmcnt(1) lgkmcnt(1)
	v_mul_f64 v[13:14], v[6:7], v[55:56]
	v_fma_f64 v[75:76], v[4:5], v[53:54], -v[13:14]
	v_mul_f64 v[4:5], v[4:5], v[55:56]
	buffer_store_dword v53, off, s[28:31], 0 offset:908 ; 4-byte Folded Spill
	buffer_store_dword v54, off, s[28:31], 0 offset:912 ; 4-byte Folded Spill
	;; [unrolled: 1-line block ×4, first 2 shown]
	v_fma_f64 v[71:72], v[6:7], v[53:54], v[4:5]
	s_waitcnt vmcnt(0)
	v_mul_f64 v[4:5], v[11:12], v[69:70]
	v_fma_f64 v[77:78], v[9:10], v[67:68], -v[4:5]
	v_mul_f64 v[4:5], v[9:10], v[69:70]
	buffer_store_dword v67, off, s[28:31], 0 offset:928 ; 4-byte Folded Spill
	buffer_store_dword v68, off, s[28:31], 0 offset:932 ; 4-byte Folded Spill
	buffer_store_dword v69, off, s[28:31], 0 offset:936 ; 4-byte Folded Spill
	buffer_store_dword v70, off, s[28:31], 0 offset:940 ; 4-byte Folded Spill
	v_fma_f64 v[73:74], v[11:12], v[67:68], v[4:5]
	v_mul_u32_u24_sdwa v4, v25, v19 dst_sel:DWORD dst_unused:UNUSED_PAD src0_sel:WORD_0 src1_sel:DWORD
	v_lshrrev_b32_e32 v4, 21, v4
	v_mul_lo_u16 v4, 0x51, v4
	v_sub_nc_u16 v25, v25, v4
	v_lshlrev_b16 v4, 5, v25
	v_and_b32_e32 v4, 0xffff, v4
	v_add_co_u32 v4, s6, s14, v4
	v_add_co_ci_u32_e64 v5, null, s15, 0, s6
	s_clause 0x1
	global_load_dwordx4 v[6:9], v[4:5], off offset:1248
	global_load_dwordx4 v[53:56], v[4:5], off offset:1264
	s_waitcnt vmcnt(1) lgkmcnt(0)
	v_mul_f64 v[4:5], v[31:32], v[8:9]
	v_fma_f64 v[87:88], v[29:30], v[6:7], -v[4:5]
	v_mul_f64 v[4:5], v[29:30], v[8:9]
	buffer_store_dword v6, off, s[28:31], 0 offset:944 ; 4-byte Folded Spill
	buffer_store_dword v7, off, s[28:31], 0 offset:948 ; 4-byte Folded Spill
	;; [unrolled: 1-line block ×4, first 2 shown]
	v_fma_f64 v[83:84], v[31:32], v[6:7], v[4:5]
	ds_read_b128 v[4:7], v138 offset:22176
	ds_read_b128 v[8:11], v138 offset:23184
	s_waitcnt vmcnt(0) lgkmcnt(1)
	v_mul_f64 v[12:13], v[6:7], v[55:56]
	v_fma_f64 v[89:90], v[4:5], v[53:54], -v[12:13]
	v_mul_f64 v[4:5], v[4:5], v[55:56]
	buffer_store_dword v53, off, s[28:31], 0 offset:960 ; 4-byte Folded Spill
	buffer_store_dword v54, off, s[28:31], 0 offset:964 ; 4-byte Folded Spill
	;; [unrolled: 1-line block ×4, first 2 shown]
	v_fma_f64 v[85:86], v[6:7], v[53:54], v[4:5]
	v_mul_u32_u24_sdwa v4, v24, v19 dst_sel:DWORD dst_unused:UNUSED_PAD src0_sel:WORD_0 src1_sel:DWORD
	v_lshrrev_b32_e32 v29, 21, v4
	v_mul_lo_u16 v4, 0x51, v29
	v_sub_nc_u16 v24, v24, v4
	v_lshlrev_b16 v4, 5, v24
	v_add_f64 v[91:92], v[83:84], -v[85:86]
	v_and_b32_e32 v4, 0xffff, v4
	v_add_co_u32 v4, s6, s14, v4
	v_add_co_ci_u32_e64 v5, null, s15, 0, s6
	s_clause 0x1
	global_load_dwordx4 v[32:35], v[4:5], off offset:1248
	global_load_dwordx4 v[53:56], v[4:5], off offset:1264
	ds_read_b128 v[4:7], v138 offset:14112
	ds_read_b128 v[12:15], v138 offset:15120
	s_waitcnt vmcnt(1) lgkmcnt(1)
	v_mul_f64 v[30:31], v[6:7], v[34:35]
	v_fma_f64 v[99:100], v[4:5], v[32:33], -v[30:31]
	v_mul_f64 v[4:5], v[4:5], v[34:35]
	buffer_store_dword v32, off, s[28:31], 0 offset:976 ; 4-byte Folded Spill
	buffer_store_dword v33, off, s[28:31], 0 offset:980 ; 4-byte Folded Spill
	;; [unrolled: 1-line block ×4, first 2 shown]
	v_fma_f64 v[95:96], v[6:7], v[32:33], v[4:5]
	s_waitcnt vmcnt(0)
	v_mul_f64 v[4:5], v[10:11], v[55:56]
	v_fma_f64 v[101:102], v[8:9], v[53:54], -v[4:5]
	v_mul_f64 v[4:5], v[8:9], v[55:56]
	buffer_store_dword v53, off, s[28:31], 0 offset:992 ; 4-byte Folded Spill
	buffer_store_dword v54, off, s[28:31], 0 offset:996 ; 4-byte Folded Spill
	;; [unrolled: 1-line block ×4, first 2 shown]
	v_fma_f64 v[97:98], v[10:11], v[53:54], v[4:5]
	v_mul_u32_u24_sdwa v4, v23, v19 dst_sel:DWORD dst_unused:UNUSED_PAD src0_sel:WORD_0 src1_sel:DWORD
	v_lshrrev_b32_e32 v30, 21, v4
	v_mul_lo_u16 v4, 0x51, v30
	v_sub_nc_u16 v23, v23, v4
	v_lshlrev_b16 v4, 5, v23
	v_and_b32_e32 v4, 0xffff, v4
	v_add_co_u32 v4, s6, s14, v4
	v_add_co_ci_u32_e64 v5, null, s15, 0, s6
	s_clause 0x1
	global_load_dwordx4 v[6:9], v[4:5], off offset:1248
	global_load_dwordx4 v[31:34], v[4:5], off offset:1264
	s_waitcnt vmcnt(1) lgkmcnt(0)
	v_mul_f64 v[4:5], v[14:15], v[8:9]
	v_fma_f64 v[111:112], v[12:13], v[6:7], -v[4:5]
	v_mul_f64 v[4:5], v[12:13], v[8:9]
	buffer_store_dword v6, off, s[28:31], 0 offset:1024 ; 4-byte Folded Spill
	buffer_store_dword v7, off, s[28:31], 0 offset:1028 ; 4-byte Folded Spill
	;; [unrolled: 1-line block ×4, first 2 shown]
	v_fma_f64 v[107:108], v[14:15], v[6:7], v[4:5]
	ds_read_b128 v[4:7], v138 offset:24192
	ds_read_b128 v[8:11], v138 offset:25200
	s_waitcnt vmcnt(0) lgkmcnt(1)
	v_mul_f64 v[12:13], v[6:7], v[33:34]
	v_fma_f64 v[113:114], v[4:5], v[31:32], -v[12:13]
	v_mul_f64 v[4:5], v[4:5], v[33:34]
	buffer_store_dword v31, off, s[28:31], 0 offset:1008 ; 4-byte Folded Spill
	buffer_store_dword v32, off, s[28:31], 0 offset:1012 ; 4-byte Folded Spill
	buffer_store_dword v33, off, s[28:31], 0 offset:1016 ; 4-byte Folded Spill
	buffer_store_dword v34, off, s[28:31], 0 offset:1020 ; 4-byte Folded Spill
	v_fma_f64 v[109:110], v[6:7], v[31:32], v[4:5]
	v_mul_u32_u24_sdwa v4, v22, v19 dst_sel:DWORD dst_unused:UNUSED_PAD src0_sel:WORD_0 src1_sel:DWORD
	v_lshrrev_b32_e32 v31, 21, v4
	v_mul_lo_u16 v4, 0x51, v31
	v_sub_nc_u16 v32, v22, v4
	v_lshlrev_b16 v4, 5, v32
	v_add_f64 v[115:116], v[107:108], -v[109:110]
	v_and_b32_e32 v4, 0xffff, v4
	v_add_co_u32 v4, s6, s14, v4
	v_add_co_ci_u32_e64 v5, null, s15, 0, s6
	s_clause 0x1
	global_load_dwordx4 v[53:56], v[4:5], off offset:1248
	global_load_dwordx4 v[67:70], v[4:5], off offset:1264
	ds_read_b128 v[4:7], v138 offset:16128
	ds_read_b128 v[12:15], v138 offset:17136
	s_waitcnt vmcnt(1) lgkmcnt(1)
	v_mul_f64 v[33:34], v[6:7], v[55:56]
	v_fma_f64 v[119:120], v[4:5], v[53:54], -v[33:34]
	v_mul_f64 v[4:5], v[4:5], v[55:56]
	buffer_store_dword v53, off, s[28:31], 0 offset:1040 ; 4-byte Folded Spill
	buffer_store_dword v54, off, s[28:31], 0 offset:1044 ; 4-byte Folded Spill
	;; [unrolled: 1-line block ×4, first 2 shown]
	v_add_f64 v[33:34], v[17:18], v[38:39]
	v_fma_f64 v[121:122], v[6:7], v[53:54], v[4:5]
	s_waitcnt vmcnt(0)
	v_mul_f64 v[4:5], v[10:11], v[69:70]
	v_fma_f64 v[123:124], v[8:9], v[67:68], -v[4:5]
	v_mul_f64 v[4:5], v[8:9], v[69:70]
	buffer_store_dword v67, off, s[28:31], 0 offset:1056 ; 4-byte Folded Spill
	buffer_store_dword v68, off, s[28:31], 0 offset:1060 ; 4-byte Folded Spill
	;; [unrolled: 1-line block ×4, first 2 shown]
	v_fma_f64 v[125:126], v[10:11], v[67:68], v[4:5]
	v_mul_u32_u24_sdwa v4, v16, v19 dst_sel:DWORD dst_unused:UNUSED_PAD src0_sel:WORD_0 src1_sel:DWORD
	v_add_f64 v[67:68], v[57:58], -v[59:60]
	v_lshrrev_b32_e32 v4, 21, v4
	v_mul_lo_u16 v4, 0x51, v4
	v_sub_nc_u16 v22, v16, v4
	v_lshlrev_b16 v4, 5, v22
	v_lshlrev_b32_sdwa v22, v66, v22 dst_sel:DWORD dst_unused:UNUSED_PAD src0_sel:DWORD src1_sel:WORD_0
	v_and_b32_e32 v4, 0xffff, v4
	v_add_co_u32 v4, s6, s14, v4
	v_add_co_ci_u32_e64 v5, null, s15, 0, s6
	s_clause 0x1
	global_load_dwordx4 v[6:9], v[4:5], off offset:1248
	global_load_dwordx4 v[53:56], v[4:5], off offset:1264
	s_waitcnt vmcnt(1) lgkmcnt(0)
	v_mul_f64 v[4:5], v[14:15], v[8:9]
	v_fma_f64 v[127:128], v[12:13], v[6:7], -v[4:5]
	v_mul_f64 v[4:5], v[12:13], v[8:9]
	buffer_store_dword v6, off, s[28:31], 0 offset:1072 ; 4-byte Folded Spill
	buffer_store_dword v7, off, s[28:31], 0 offset:1076 ; 4-byte Folded Spill
	;; [unrolled: 1-line block ×4, first 2 shown]
	v_fma_f64 v[12:13], v[14:15], v[6:7], v[4:5]
	ds_read_b128 v[4:7], v138 offset:26208
	s_waitcnt vmcnt(0) lgkmcnt(0)
	v_mul_f64 v[8:9], v[6:7], v[55:56]
	v_fma_f64 v[129:130], v[4:5], v[53:54], -v[8:9]
	v_mul_f64 v[4:5], v[4:5], v[55:56]
	buffer_store_dword v53, off, s[28:31], 0 offset:1088 ; 4-byte Folded Spill
	buffer_store_dword v54, off, s[28:31], 0 offset:1092 ; 4-byte Folded Spill
	;; [unrolled: 1-line block ×4, first 2 shown]
	v_add_f64 v[55:56], v[36:37], -v[40:41]
	v_fma_f64 v[14:15], v[6:7], v[53:54], v[4:5]
	ds_read_b128 v[4:7], v138
	ds_read_b128 v[8:11], v138 offset:1008
	s_waitcnt lgkmcnt(1)
	v_fma_f64 v[42:43], v[33:34], -0.5, v[4:5]
	v_add_f64 v[33:34], v[36:37], v[40:41]
	v_add_f64 v[4:5], v[4:5], v[17:18]
	v_fma_f64 v[53:54], v[33:34], -0.5, v[6:7]
	v_add_f64 v[6:7], v[6:7], v[36:37]
	v_add_f64 v[33:34], v[4:5], v[38:39]
	v_add_f64 v[4:5], v[17:18], -v[38:39]
	v_fma_f64 v[37:38], v[55:56], s[0:1], v[42:43]
	v_add_f64 v[16:17], v[45:46], -v[47:48]
	v_add_f64 v[18:19], v[57:58], v[59:60]
	v_add_f64 v[35:36], v[6:7], v[40:41]
	v_fma_f64 v[41:42], v[55:56], s[2:3], v[42:43]
	v_fma_f64 v[39:40], v[4:5], s[2:3], v[53:54]
	;; [unrolled: 1-line block ×3, first 2 shown]
	v_add_f64 v[4:5], v[49:50], v[51:52]
	v_add_f64 v[6:7], v[45:46], v[47:48]
	s_waitcnt lgkmcnt(0)
	v_fma_f64 v[4:5], v[4:5], -0.5, v[8:9]
	v_add_f64 v[8:9], v[8:9], v[49:50]
	v_fma_f64 v[6:7], v[6:7], -0.5, v[10:11]
	v_add_f64 v[10:11], v[10:11], v[45:46]
	v_fma_f64 v[53:54], v[16:17], s[2:3], v[4:5]
	v_add_f64 v[45:46], v[8:9], v[51:52]
	v_add_f64 v[8:9], v[49:50], -v[51:52]
	v_fma_f64 v[49:50], v[16:17], s[0:1], v[4:5]
	v_add_f64 v[16:17], v[61:62], v[63:64]
	v_add_f64 v[47:48], v[10:11], v[47:48]
	v_fma_f64 v[51:52], v[8:9], s[2:3], v[6:7]
	v_fma_f64 v[55:56], v[8:9], s[0:1], v[6:7]
	ds_read_b128 v[4:7], v138 offset:2016
	ds_read_b128 v[8:11], v138 offset:3024
	s_waitcnt lgkmcnt(1)
	v_fma_f64 v[16:17], v[16:17], -0.5, v[4:5]
	v_add_f64 v[4:5], v[4:5], v[61:62]
	v_fma_f64 v[18:19], v[18:19], -0.5, v[6:7]
	v_add_f64 v[6:7], v[6:7], v[57:58]
	v_add_f64 v[57:58], v[4:5], v[63:64]
	v_add_f64 v[4:5], v[61:62], -v[63:64]
	v_add_f64 v[59:60], v[6:7], v[59:60]
	v_add_f64 v[6:7], v[71:72], v[73:74]
	v_fma_f64 v[61:62], v[67:68], s[0:1], v[16:17]
	v_fma_f64 v[67:68], v[67:68], s[2:3], v[16:17]
	v_add_f64 v[16:17], v[71:72], -v[73:74]
	v_fma_f64 v[63:64], v[4:5], s[2:3], v[18:19]
	v_fma_f64 v[69:70], v[4:5], s[0:1], v[18:19]
	v_add_f64 v[4:5], v[75:76], v[77:78]
	s_waitcnt lgkmcnt(0)
	v_fma_f64 v[6:7], v[6:7], -0.5, v[10:11]
	v_add_f64 v[10:11], v[10:11], v[71:72]
	v_add_f64 v[18:19], v[83:84], v[85:86]
	v_fma_f64 v[4:5], v[4:5], -0.5, v[8:9]
	v_add_f64 v[8:9], v[8:9], v[75:76]
	v_add_f64 v[73:74], v[10:11], v[73:74]
	v_fma_f64 v[79:80], v[16:17], s[2:3], v[4:5]
	v_add_f64 v[71:72], v[8:9], v[77:78]
	v_add_f64 v[8:9], v[75:76], -v[77:78]
	v_fma_f64 v[75:76], v[16:17], s[0:1], v[4:5]
	v_add_f64 v[16:17], v[87:88], v[89:90]
	v_fma_f64 v[77:78], v[8:9], s[2:3], v[6:7]
	v_fma_f64 v[81:82], v[8:9], s[0:1], v[6:7]
	ds_read_b128 v[4:7], v138 offset:4032
	ds_read_b128 v[8:11], v138 offset:5040
	s_waitcnt lgkmcnt(1)
	v_fma_f64 v[16:17], v[16:17], -0.5, v[4:5]
	v_add_f64 v[4:5], v[4:5], v[87:88]
	v_fma_f64 v[18:19], v[18:19], -0.5, v[6:7]
	v_add_f64 v[6:7], v[6:7], v[83:84]
	v_add_f64 v[83:84], v[4:5], v[89:90]
	v_add_f64 v[4:5], v[87:88], -v[89:90]
	v_add_f64 v[85:86], v[6:7], v[85:86]
	v_add_f64 v[6:7], v[95:96], v[97:98]
	v_fma_f64 v[87:88], v[91:92], s[0:1], v[16:17]
	v_fma_f64 v[91:92], v[91:92], s[2:3], v[16:17]
	v_add_f64 v[16:17], v[95:96], -v[97:98]
	v_fma_f64 v[89:90], v[4:5], s[2:3], v[18:19]
	v_fma_f64 v[93:94], v[4:5], s[0:1], v[18:19]
	v_add_f64 v[4:5], v[99:100], v[101:102]
	s_waitcnt lgkmcnt(0)
	v_fma_f64 v[6:7], v[6:7], -0.5, v[10:11]
	v_add_f64 v[10:11], v[10:11], v[95:96]
	v_add_f64 v[18:19], v[107:108], v[109:110]
	v_fma_f64 v[4:5], v[4:5], -0.5, v[8:9]
	v_add_f64 v[8:9], v[8:9], v[99:100]
	v_add_f64 v[97:98], v[10:11], v[97:98]
	v_fma_f64 v[103:104], v[16:17], s[2:3], v[4:5]
	v_add_f64 v[95:96], v[8:9], v[101:102]
	v_add_f64 v[8:9], v[99:100], -v[101:102]
	v_fma_f64 v[99:100], v[16:17], s[0:1], v[4:5]
	v_add_f64 v[16:17], v[111:112], v[113:114]
	v_fma_f64 v[101:102], v[8:9], s[2:3], v[6:7]
	v_fma_f64 v[105:106], v[8:9], s[0:1], v[6:7]
	ds_read_b128 v[4:7], v138 offset:6048
	ds_read_b128 v[8:11], v138 offset:7056
	s_waitcnt lgkmcnt(0)
	s_waitcnt_vscnt null, 0x0
	s_barrier
	buffer_gl0_inv
	ds_write_b128 v138, v[33:36]
	ds_write_b128 v138, v[37:40] offset:1296
	ds_write_b128 v138, v[41:44] offset:2592
	v_cndmask_b32_e64 v33, 0, 0xf3, vcc_lo
	v_cmp_gt_u16_e32 vcc_lo, 54, v240
	v_add_lshl_u32 v20, v20, v33, 4
	ds_write_b128 v20, v[45:48]
	ds_write_b128 v20, v[49:52] offset:1296
	buffer_store_dword v20, off, s[28:31], 0 offset:460 ; 4-byte Folded Spill
	ds_write_b128 v20, v[53:56] offset:2592
	v_mov_b32_e32 v20, 0xf3
	v_fma_f64 v[16:17], v[16:17], -0.5, v[4:5]
	v_add_f64 v[4:5], v[4:5], v[111:112]
	v_fma_f64 v[18:19], v[18:19], -0.5, v[6:7]
	v_add_f64 v[6:7], v[6:7], v[107:108]
	v_mul_u32_u24_sdwa v21, v21, v20 dst_sel:DWORD dst_unused:UNUSED_PAD src0_sel:WORD_0 src1_sel:DWORD
	v_mul_u32_u24_sdwa v20, v27, v20 dst_sel:DWORD dst_unused:UNUSED_PAD src0_sel:WORD_0 src1_sel:DWORD
	v_add_lshl_u32 v21, v21, v26, 4
	v_add_lshl_u32 v20, v20, v28, 4
	ds_write_b128 v21, v[57:60]
	ds_write_b128 v21, v[61:64] offset:1296
	buffer_store_dword v21, off, s[28:31], 0 offset:464 ; 4-byte Folded Spill
	ds_write_b128 v21, v[67:70] offset:2592
	ds_write_b128 v20, v[71:74]
	ds_write_b128 v20, v[75:78] offset:1296
	buffer_store_dword v20, off, s[28:31], 0 offset:468 ; 4-byte Folded Spill
	ds_write_b128 v20, v[79:82] offset:2592
	v_lshlrev_b32_sdwa v20, v66, v25 dst_sel:DWORD dst_unused:UNUSED_PAD src0_sel:DWORD src1_sel:WORD_0
	ds_write_b128 v20, v[83:86] offset:11664
	ds_write_b128 v20, v[87:90] offset:12960
	v_add_f64 v[107:108], v[4:5], v[113:114]
	v_add_f64 v[4:5], v[111:112], -v[113:114]
	v_add_f64 v[109:110], v[6:7], v[109:110]
	v_fma_f64 v[111:112], v[115:116], s[0:1], v[16:17]
	v_fma_f64 v[115:116], v[115:116], s[2:3], v[16:17]
	buffer_store_dword v20, off, s[28:31], 0 offset:472 ; 4-byte Folded Spill
	ds_write_b128 v20, v[91:94] offset:14256
	v_mad_u16 v20, 0xf3, v29, v24
                                        ; implicit-def: $vgpr24_vgpr25
	v_lshlrev_b32_sdwa v20, v66, v20 dst_sel:DWORD dst_unused:UNUSED_PAD src0_sel:DWORD src1_sel:WORD_0
	ds_write_b128 v20, v[95:98]
	ds_write_b128 v20, v[99:102] offset:1296
	buffer_store_dword v20, off, s[28:31], 0 offset:476 ; 4-byte Folded Spill
	ds_write_b128 v20, v[103:106] offset:2592
	v_mad_u16 v20, 0xf3, v30, v23
	v_fma_f64 v[113:114], v[4:5], s[2:3], v[18:19]
	v_fma_f64 v[117:118], v[4:5], s[0:1], v[18:19]
	v_add_f64 v[4:5], v[119:120], v[123:124]
	v_add_f64 v[18:19], v[119:120], -v[123:124]
	v_lshlrev_b32_sdwa v20, v66, v20 dst_sel:DWORD dst_unused:UNUSED_PAD src0_sel:DWORD src1_sel:WORD_0
	ds_write_b128 v20, v[107:110]
	ds_write_b128 v20, v[111:114] offset:1296
	buffer_store_dword v20, off, s[28:31], 0 offset:480 ; 4-byte Folded Spill
	ds_write_b128 v20, v[115:118] offset:2592
	v_fma_f64 v[6:7], v[4:5], -0.5, v[8:9]
	v_add_f64 v[4:5], v[121:122], v[125:126]
	v_add_f64 v[8:9], v[8:9], v[119:120]
	v_mad_u16 v20, 0xf3, v31, v32
	v_lshlrev_b32_sdwa v23, v66, v20 dst_sel:DWORD dst_unused:UNUSED_PAD src0_sel:DWORD src1_sel:WORD_0
	v_fma_f64 v[16:17], v[4:5], -0.5, v[10:11]
	v_add_f64 v[4:5], v[10:11], v[121:122]
	v_add_f64 v[10:11], v[121:122], -v[125:126]
	v_add_f64 v[236:237], v[8:9], v[123:124]
	v_add_f64 v[121:122], v[12:13], -v[14:15]
	v_add_f64 v[238:239], v[4:5], v[125:126]
	v_fma_f64 v[4:5], v[10:11], s[0:1], v[6:7]
	v_fma_f64 v[8:9], v[10:11], s[2:3], v[6:7]
	;; [unrolled: 1-line block ×4, first 2 shown]
	v_add_f64 v[16:17], v[127:128], v[129:130]
	ds_write_b128 v23, v[236:239]
	ds_write_b128 v23, v[4:7] offset:1296
	buffer_store_dword v23, off, s[28:31], 0 offset:568 ; 4-byte Folded Spill
	v_fma_f64 v[18:19], v[16:17], -0.5, v[0:1]
	v_add_f64 v[16:17], v[12:13], v[14:15]
	v_add_f64 v[0:1], v[0:1], v[127:128]
	v_fma_f64 v[119:120], v[16:17], -0.5, v[2:3]
	v_add_f64 v[2:3], v[2:3], v[12:13]
	v_add_f64 v[12:13], v[0:1], v[129:130]
	v_fma_f64 v[16:17], v[121:122], s[0:1], v[18:19]
	v_fma_f64 v[0:1], v[121:122], s[2:3], v[18:19]
	v_add_f64 v[14:15], v[2:3], v[14:15]
	v_add_f64 v[2:3], v[127:128], -v[129:130]
	v_fma_f64 v[18:19], v[2:3], s[2:3], v[119:120]
	v_fma_f64 v[2:3], v[2:3], s[0:1], v[119:120]
	ds_write_b128 v23, v[8:11] offset:2592
	ds_write_b128 v22, v[12:15] offset:23328
	;; [unrolled: 1-line block ×3, first 2 shown]
	buffer_store_dword v22, off, s[28:31], 0 offset:564 ; 4-byte Folded Spill
	s_load_dwordx2 s[2:3], s[4:5], 0x38
	ds_write_b128 v22, v[0:3] offset:25920
	s_waitcnt lgkmcnt(0)
	s_waitcnt_vscnt null, 0x0
	s_barrier
	buffer_gl0_inv
	ds_read_b128 v[20:23], v138
	ds_read_b128 v[248:251], v138 offset:1008
	ds_read_b128 v[92:95], v138 offset:7776
	ds_read_b128 v[68:71], v138 offset:8784
	ds_read_b128 v[88:91], v138 offset:15552
	ds_read_b128 v[64:67], v138 offset:16560
	ds_read_b128 v[80:83], v138 offset:23328
	ds_read_b128 v[56:59], v138 offset:24336
	ds_read_b128 v[100:103], v138 offset:3888
	ds_read_b128 v[240:243], v138 offset:2016
	ds_read_b128 v[76:79], v138 offset:4896
	ds_read_b128 v[48:51], v138 offset:5904
	ds_read_b128 v[96:99], v138 offset:11664
	ds_read_b128 v[44:47], v138 offset:9792
	ds_read_b128 v[72:75], v138 offset:12672
	ds_read_b128 v[40:43], v138 offset:13680
	ds_read_b128 v[84:87], v138 offset:19440
	ds_read_b128 v[36:39], v138 offset:17568
	ds_read_b128 v[60:63], v138 offset:20448
	ds_read_b128 v[32:35], v138 offset:21456
	ds_read_b128 v[28:31], v138 offset:25344
	s_and_saveexec_b32 s0, vcc_lo
	s_cbranch_execz .LBB0_3
; %bb.2:
	ds_read_b128 v[236:239], v138 offset:3024
	ds_read_b128 v[4:7], v138 offset:6912
	ds_read_b128 v[8:11], v138 offset:10800
	ds_read_b128 v[12:15], v138 offset:14688
	ds_read_b128 v[16:19], v138 offset:18576
	ds_read_b128 v[0:3], v138 offset:22464
	ds_read_b128 v[24:27], v138 offset:26352
.LBB0_3:
	s_or_b32 exec_lo, exec_lo, s0
	buffer_load_dword v132, off, s[28:31], 0 ; 4-byte Folded Reload
	s_mov_b32 s24, 0x37e14327
	s_mov_b32 s6, 0xe976ee23
	s_mov_b32 s4, 0x429ad128
	s_mov_b32 s25, 0x3fe948f6
	s_mov_b32 s7, 0xbfe11646
	s_mov_b32 s5, 0x3febfeb5
	s_mov_b32 s20, 0xaaaaaaaa
	s_mov_b32 s22, 0xb247c609
	s_mov_b32 s21, 0xbff2aaaa
	s_mov_b32 s17, 0xbfe77f67
	s_mov_b32 s23, 0x3fd5d0dc
	s_mov_b32 s27, 0xbfd5d0dc
	s_mov_b32 s26, s22
	s_mov_b32 s18, 0x37c3f68c
	s_mov_b32 s19, 0x3fdc38aa
	s_waitcnt vmcnt(0)
	v_mad_u64_u32 v[136:137], null, 0x60, v132, s[14:15]
	v_add_co_u32 v52, s0, 0xf00, v136
	v_add_co_ci_u32_e64 v53, s0, 0, v137, s0
	v_add_co_u32 v54, s0, 0x800, v136
	v_add_co_ci_u32_e64 v55, s0, 0, v137, s0
	s_clause 0x3
	global_load_dwordx4 v[116:119], v[54:55], off offset:1792
	global_load_dwordx4 v[104:107], v[52:53], off offset:48
	;; [unrolled: 1-line block ×4, first 2 shown]
	s_waitcnt vmcnt(3) lgkmcnt(12)
	v_mul_f64 v[52:53], v[102:103], v[118:119]
	v_fma_f64 v[244:245], v[100:101], v[116:117], -v[52:53]
	v_mul_f64 v[52:53], v[100:101], v[118:119]
	buffer_store_dword v116, off, s[28:31], 0 offset:532 ; 4-byte Folded Spill
	buffer_store_dword v117, off, s[28:31], 0 offset:536 ; 4-byte Folded Spill
	;; [unrolled: 1-line block ×4, first 2 shown]
	v_fma_f64 v[254:255], v[102:103], v[116:117], v[52:53]
	s_waitcnt vmcnt(0)
	v_mul_f64 v[52:53], v[94:95], v[114:115]
	v_fma_f64 v[246:247], v[92:93], v[112:113], -v[52:53]
	v_mul_f64 v[52:53], v[92:93], v[114:115]
	buffer_store_dword v112, off, s[28:31], 0 offset:516 ; 4-byte Folded Spill
	buffer_store_dword v113, off, s[28:31], 0 offset:520 ; 4-byte Folded Spill
	;; [unrolled: 1-line block ×4, first 2 shown]
	v_fma_f64 v[120:121], v[94:95], v[112:113], v[52:53]
	s_waitcnt lgkmcnt(8)
	v_mul_f64 v[52:53], v[98:99], v[110:111]
	v_fma_f64 v[252:253], v[96:97], v[108:109], -v[52:53]
	v_mul_f64 v[52:53], v[96:97], v[110:111]
	buffer_store_dword v108, off, s[28:31], 0 offset:500 ; 4-byte Folded Spill
	buffer_store_dword v109, off, s[28:31], 0 offset:504 ; 4-byte Folded Spill
	;; [unrolled: 1-line block ×4, first 2 shown]
	v_fma_f64 v[122:123], v[98:99], v[108:109], v[52:53]
	v_mul_f64 v[52:53], v[90:91], v[106:107]
	v_fma_f64 v[124:125], v[88:89], v[104:105], -v[52:53]
	v_mul_f64 v[52:53], v[88:89], v[106:107]
	buffer_store_dword v104, off, s[28:31], 0 offset:484 ; 4-byte Folded Spill
	buffer_store_dword v105, off, s[28:31], 0 offset:488 ; 4-byte Folded Spill
	;; [unrolled: 1-line block ×4, first 2 shown]
	v_fma_f64 v[126:127], v[90:91], v[104:105], v[52:53]
	v_add_co_u32 v52, s0, 0xf40, v136
	v_add_co_ci_u32_e64 v53, s0, 0, v137, s0
	s_clause 0x1
	global_load_dwordx4 v[92:95], v[54:55], off offset:1856
	global_load_dwordx4 v[88:91], v[52:53], off offset:16
	s_waitcnt vmcnt(1) lgkmcnt(4)
	v_mul_f64 v[52:53], v[86:87], v[94:95]
	s_waitcnt vmcnt(0)
	v_mul_f64 v[54:55], v[80:81], v[90:91]
	v_fma_f64 v[128:129], v[84:85], v[92:93], -v[52:53]
	v_mul_f64 v[52:53], v[84:85], v[94:95]
	buffer_store_dword v92, off, s[28:31], 0 offset:764 ; 4-byte Folded Spill
	buffer_store_dword v93, off, s[28:31], 0 offset:768 ; 4-byte Folded Spill
	;; [unrolled: 1-line block ×4, first 2 shown]
	v_fma_f64 v[130:131], v[86:87], v[92:93], v[52:53]
	v_mul_f64 v[52:53], v[82:83], v[90:91]
	v_fma_f64 v[52:53], v[80:81], v[88:89], -v[52:53]
	buffer_store_dword v88, off, s[28:31], 0 offset:548 ; 4-byte Folded Spill
	buffer_store_dword v89, off, s[28:31], 0 offset:552 ; 4-byte Folded Spill
	;; [unrolled: 1-line block ×4, first 2 shown]
	v_add_co_u32 v80, s0, 0x26a0, v136
	v_add_co_ci_u32_e64 v81, s0, 0, v137, s0
	v_fma_f64 v[54:55], v[82:83], v[88:89], v[54:55]
	v_add_co_u32 v82, s0, 0x2000, v136
	v_add_co_ci_u32_e64 v83, s0, 0, v137, s0
	s_clause 0x3
	global_load_dwordx4 v[98:101], v[82:83], off offset:1696
	global_load_dwordx4 v[84:87], v[80:81], off offset:48
	;; [unrolled: 1-line block ×4, first 2 shown]
	s_waitcnt vmcnt(3)
	v_mul_f64 v[80:81], v[78:79], v[100:101]
	v_fma_f64 v[96:97], v[76:77], v[98:99], -v[80:81]
	v_mul_f64 v[76:77], v[76:77], v[100:101]
	buffer_store_dword v98, off, s[28:31], 0 offset:652 ; 4-byte Folded Spill
	buffer_store_dword v99, off, s[28:31], 0 offset:656 ; 4-byte Folded Spill
	;; [unrolled: 1-line block ×4, first 2 shown]
	v_fma_f64 v[102:103], v[78:79], v[98:99], v[76:77]
	s_waitcnt vmcnt(0)
	v_mul_f64 v[76:77], v[70:71], v[94:95]
	v_fma_f64 v[98:99], v[68:69], v[92:93], -v[76:77]
	v_mul_f64 v[68:69], v[68:69], v[94:95]
	buffer_store_dword v92, off, s[28:31], 0 offset:620 ; 4-byte Folded Spill
	buffer_store_dword v93, off, s[28:31], 0 offset:624 ; 4-byte Folded Spill
	buffer_store_dword v94, off, s[28:31], 0 offset:628 ; 4-byte Folded Spill
	buffer_store_dword v95, off, s[28:31], 0 offset:632 ; 4-byte Folded Spill
	v_fma_f64 v[104:105], v[70:71], v[92:93], v[68:69]
	v_mul_f64 v[68:69], v[74:75], v[90:91]
	v_fma_f64 v[100:101], v[72:73], v[88:89], -v[68:69]
	v_mul_f64 v[68:69], v[72:73], v[90:91]
	buffer_store_dword v88, off, s[28:31], 0 offset:588 ; 4-byte Folded Spill
	buffer_store_dword v89, off, s[28:31], 0 offset:592 ; 4-byte Folded Spill
	buffer_store_dword v90, off, s[28:31], 0 offset:596 ; 4-byte Folded Spill
	buffer_store_dword v91, off, s[28:31], 0 offset:600 ; 4-byte Folded Spill
	v_fma_f64 v[106:107], v[74:75], v[88:89], v[68:69]
	;; [unrolled: 8-line block ×3, first 2 shown]
	v_add_co_u32 v64, s0, 0x26e0, v136
	v_add_co_ci_u32_e64 v65, s0, 0, v137, s0
	s_clause 0x1
	global_load_dwordx4 v[70:73], v[82:83], off offset:1760
	global_load_dwordx4 v[66:69], v[64:65], off offset:16
	s_waitcnt vmcnt(1) lgkmcnt(2)
	v_mul_f64 v[64:65], v[62:63], v[72:73]
	v_fma_f64 v[112:113], v[60:61], v[70:71], -v[64:65]
	v_mul_f64 v[60:61], v[60:61], v[72:73]
	buffer_store_dword v70, off, s[28:31], 0 offset:748 ; 4-byte Folded Spill
	buffer_store_dword v71, off, s[28:31], 0 offset:752 ; 4-byte Folded Spill
	;; [unrolled: 1-line block ×4, first 2 shown]
	v_fma_f64 v[114:115], v[62:63], v[70:71], v[60:61]
	s_waitcnt vmcnt(0)
	v_mul_f64 v[60:61], v[58:59], v[68:69]
	v_fma_f64 v[116:117], v[56:57], v[66:67], -v[60:61]
	v_mul_f64 v[56:57], v[56:57], v[68:69]
	buffer_store_dword v66, off, s[28:31], 0 offset:668 ; 4-byte Folded Spill
	buffer_store_dword v67, off, s[28:31], 0 offset:672 ; 4-byte Folded Spill
	buffer_store_dword v68, off, s[28:31], 0 offset:676 ; 4-byte Folded Spill
	buffer_store_dword v69, off, s[28:31], 0 offset:680 ; 4-byte Folded Spill
	v_fma_f64 v[118:119], v[58:59], v[66:67], v[56:57]
	v_add_co_u32 v56, s0, 0x3e40, v136
	v_add_co_ci_u32_e64 v57, s0, 0, v137, s0
	v_add_co_u32 v64, s0, 0x3800, v136
	v_add_co_ci_u32_e64 v65, s0, 0, v137, s0
	s_clause 0x3
	global_load_dwordx4 v[74:77], v[64:65], off offset:1600
	global_load_dwordx4 v[66:69], v[56:57], off offset:48
	;; [unrolled: 1-line block ×4, first 2 shown]
	s_waitcnt vmcnt(3)
	v_mul_f64 v[56:57], v[50:51], v[76:77]
	v_fma_f64 v[56:57], v[48:49], v[74:75], -v[56:57]
	v_mul_f64 v[48:49], v[48:49], v[76:77]
	buffer_store_dword v74, off, s[28:31], 0 offset:700 ; 4-byte Folded Spill
	buffer_store_dword v75, off, s[28:31], 0 offset:704 ; 4-byte Folded Spill
	;; [unrolled: 1-line block ×4, first 2 shown]
	v_fma_f64 v[58:59], v[50:51], v[74:75], v[48:49]
	s_waitcnt vmcnt(0)
	v_mul_f64 v[48:49], v[46:47], v[72:73]
	v_fma_f64 v[48:49], v[44:45], v[70:71], -v[48:49]
	v_mul_f64 v[44:45], v[44:45], v[72:73]
	buffer_store_dword v70, off, s[28:31], 0 offset:684 ; 4-byte Folded Spill
	buffer_store_dword v71, off, s[28:31], 0 offset:688 ; 4-byte Folded Spill
	buffer_store_dword v72, off, s[28:31], 0 offset:692 ; 4-byte Folded Spill
	buffer_store_dword v73, off, s[28:31], 0 offset:696 ; 4-byte Folded Spill
	v_fma_f64 v[46:47], v[46:47], v[70:71], v[44:45]
	v_mul_f64 v[44:45], v[42:43], v[62:63]
	v_fma_f64 v[44:45], v[40:41], v[60:61], -v[44:45]
	v_mul_f64 v[40:41], v[40:41], v[62:63]
	buffer_store_dword v60, off, s[28:31], 0 offset:636 ; 4-byte Folded Spill
	buffer_store_dword v61, off, s[28:31], 0 offset:640 ; 4-byte Folded Spill
	buffer_store_dword v62, off, s[28:31], 0 offset:644 ; 4-byte Folded Spill
	buffer_store_dword v63, off, s[28:31], 0 offset:648 ; 4-byte Folded Spill
	v_fma_f64 v[50:51], v[42:43], v[60:61], v[40:41]
	;; [unrolled: 8-line block ×3, first 2 shown]
	v_add_co_u32 v36, s0, 0x3e80, v136
	v_add_co_ci_u32_e64 v37, s0, 0, v137, s0
	s_clause 0x1
	global_load_dwordx4 v[66:69], v[64:65], off offset:1664
	global_load_dwordx4 v[38:41], v[36:37], off offset:16
	s_waitcnt vmcnt(1) lgkmcnt(1)
	v_mul_f64 v[36:37], v[34:35], v[68:69]
	v_fma_f64 v[64:65], v[32:33], v[66:67], -v[36:37]
	v_mul_f64 v[32:33], v[32:33], v[68:69]
	buffer_store_dword v66, off, s[28:31], 0 offset:732 ; 4-byte Folded Spill
	buffer_store_dword v67, off, s[28:31], 0 offset:736 ; 4-byte Folded Spill
	buffer_store_dword v68, off, s[28:31], 0 offset:740 ; 4-byte Folded Spill
	buffer_store_dword v69, off, s[28:31], 0 offset:744 ; 4-byte Folded Spill
	v_fma_f64 v[66:67], v[34:35], v[66:67], v[32:33]
	s_waitcnt vmcnt(0) lgkmcnt(0)
	v_mul_f64 v[32:33], v[30:31], v[40:41]
	v_fma_f64 v[68:69], v[28:29], v[38:39], -v[32:33]
	v_mul_f64 v[28:29], v[28:29], v[40:41]
	buffer_store_dword v38, off, s[28:31], 0 offset:716 ; 4-byte Folded Spill
	buffer_store_dword v39, off, s[28:31], 0 offset:720 ; 4-byte Folded Spill
	;; [unrolled: 1-line block ×4, first 2 shown]
	v_fma_f64 v[70:71], v[30:31], v[38:39], v[28:29]
	v_subrev_nc_u32_e32 v28, 54, v132
	v_cndmask_b32_e32 v28, v28, v139, vcc_lo
	v_mul_hi_i32_i24_e32 v29, 0x60, v28
	v_mul_i32_i24_e32 v28, 0x60, v28
	v_add_co_u32 v32, s0, s14, v28
	v_add_co_ci_u32_e64 v33, s0, s15, v29, s0
	s_mov_b32 s14, 0x5476071b
	v_add_co_u32 v28, s0, 0xf00, v32
	v_add_co_ci_u32_e64 v29, s0, 0, v33, s0
	v_add_co_u32 v30, s0, 0x800, v32
	v_add_co_ci_u32_e64 v31, s0, 0, v33, s0
	s_clause 0x3
	global_load_dwordx4 v[72:75], v[30:31], off offset:1792
	global_load_dwordx4 v[34:37], v[28:29], off offset:48
	;; [unrolled: 1-line block ×4, first 2 shown]
	s_mov_b32 s15, 0x3fe77f67
	s_mov_b32 s16, s14
	s_waitcnt vmcnt(3)
	v_mul_f64 v[28:29], v[6:7], v[74:75]
	v_fma_f64 v[84:85], v[4:5], v[72:73], -v[28:29]
	v_mul_f64 v[4:5], v[4:5], v[74:75]
	buffer_store_dword v72, off, s[28:31], 0 offset:1720 ; 4-byte Folded Spill
	buffer_store_dword v73, off, s[28:31], 0 offset:1724 ; 4-byte Folded Spill
	;; [unrolled: 1-line block ×4, first 2 shown]
	v_fma_f64 v[86:87], v[6:7], v[72:73], v[4:5]
	s_waitcnt vmcnt(0)
	v_mul_f64 v[4:5], v[10:11], v[78:79]
	v_fma_f64 v[80:81], v[8:9], v[76:77], -v[4:5]
	v_mul_f64 v[4:5], v[8:9], v[78:79]
	buffer_store_dword v76, off, s[28:31], 0 offset:1736 ; 4-byte Folded Spill
	buffer_store_dword v77, off, s[28:31], 0 offset:1740 ; 4-byte Folded Spill
	;; [unrolled: 1-line block ×4, first 2 shown]
	v_fma_f64 v[82:83], v[10:11], v[76:77], v[4:5]
	v_mul_f64 v[4:5], v[14:15], v[40:41]
	v_fma_f64 v[72:73], v[12:13], v[38:39], -v[4:5]
	v_mul_f64 v[4:5], v[12:13], v[40:41]
	buffer_store_dword v38, off, s[28:31], 0 offset:1704 ; 4-byte Folded Spill
	buffer_store_dword v39, off, s[28:31], 0 offset:1708 ; 4-byte Folded Spill
	;; [unrolled: 1-line block ×4, first 2 shown]
	v_fma_f64 v[74:75], v[14:15], v[38:39], v[4:5]
	v_mul_f64 v[4:5], v[18:19], v[36:37]
	v_add_f64 v[14:15], v[120:121], -v[130:131]
	v_fma_f64 v[76:77], v[16:17], v[34:35], -v[4:5]
	v_mul_f64 v[4:5], v[16:17], v[36:37]
	buffer_store_dword v34, off, s[28:31], 0 offset:1688 ; 4-byte Folded Spill
	buffer_store_dword v35, off, s[28:31], 0 offset:1692 ; 4-byte Folded Spill
	;; [unrolled: 1-line block ×4, first 2 shown]
	v_add_f64 v[16:17], v[252:253], v[124:125]
	v_fma_f64 v[78:79], v[18:19], v[34:35], v[4:5]
	v_add_co_u32 v4, s0, 0xf40, v32
	v_add_co_ci_u32_e64 v5, s0, 0, v33, s0
	s_clause 0x1
	global_load_dwordx4 v[6:9], v[30:31], off offset:1856
	global_load_dwordx4 v[10:13], v[4:5], off offset:16
	v_add_f64 v[18:19], v[122:123], v[126:127]
	s_mov_b32 s0, 0x36b3c0b5
	s_mov_b32 s1, 0x3fac98ee
	s_waitcnt vmcnt(1)
	v_mul_f64 v[4:5], v[2:3], v[8:9]
	v_fma_f64 v[88:89], v[0:1], v[6:7], -v[4:5]
	v_mul_f64 v[0:1], v[0:1], v[8:9]
	buffer_store_dword v6, off, s[28:31], 0 offset:1752 ; 4-byte Folded Spill
	buffer_store_dword v7, off, s[28:31], 0 offset:1756 ; 4-byte Folded Spill
	;; [unrolled: 1-line block ×4, first 2 shown]
	v_add_f64 v[8:9], v[246:247], v[128:129]
	v_add_f64 v[4:5], v[244:245], -v[52:53]
	v_fma_f64 v[90:91], v[2:3], v[6:7], v[0:1]
	s_waitcnt vmcnt(0)
	v_mul_f64 v[0:1], v[26:27], v[12:13]
	v_add_f64 v[2:3], v[254:255], v[54:55]
	v_add_f64 v[6:7], v[254:255], -v[54:55]
	v_fma_f64 v[92:93], v[24:25], v[10:11], -v[0:1]
	v_mul_f64 v[0:1], v[24:25], v[12:13]
	buffer_store_dword v10, off, s[28:31], 0 offset:1768 ; 4-byte Folded Spill
	buffer_store_dword v11, off, s[28:31], 0 offset:1772 ; 4-byte Folded Spill
	;; [unrolled: 1-line block ×4, first 2 shown]
	v_add_f64 v[12:13], v[246:247], -v[128:129]
	v_add_f64 v[24:25], v[124:125], -v[252:253]
	v_add_f64 v[36:37], v[24:25], v[12:13]
	v_add_f64 v[40:41], v[24:25], -v[12:13]
	v_add_f64 v[12:13], v[12:13], -v[4:5]
	;; [unrolled: 1-line block ×3, first 2 shown]
	v_add_f64 v[4:5], v[36:37], v[4:5]
	v_mul_f64 v[36:37], v[12:13], s[4:5]
	v_fma_f64 v[94:95], v[26:27], v[10:11], v[0:1]
	v_add_f64 v[0:1], v[244:245], v[52:53]
	v_add_f64 v[10:11], v[120:121], v[130:131]
	v_add_f64 v[26:27], v[126:127], -v[122:123]
	v_add_f64 v[28:29], v[8:9], v[0:1]
	v_add_f64 v[30:31], v[10:11], v[2:3]
	v_add_f64 v[32:33], v[8:9], -v[0:1]
	v_add_f64 v[34:35], v[10:11], -v[2:3]
	;; [unrolled: 1-line block ×6, first 2 shown]
	v_add_f64 v[38:39], v[26:27], v[14:15]
	v_add_f64 v[42:43], v[26:27], -v[14:15]
	v_add_f64 v[14:15], v[14:15], -v[6:7]
	v_add_f64 v[26:27], v[6:7], -v[26:27]
	v_add_f64 v[16:17], v[16:17], v[28:29]
	v_add_f64 v[18:19], v[18:19], v[30:31]
	v_mul_f64 v[28:29], v[40:41], s[6:7]
	v_add_f64 v[40:41], v[108:109], -v[100:101]
	v_mul_f64 v[0:1], v[0:1], s[24:25]
	v_mul_f64 v[2:3], v[2:3], s[24:25]
	v_add_f64 v[6:7], v[38:39], v[6:7]
	v_mul_f64 v[30:31], v[42:43], s[6:7]
	v_mul_f64 v[38:39], v[14:15], s[4:5]
	v_add_f64 v[42:43], v[110:111], -v[106:107]
	v_add_f64 v[244:245], v[20:21], v[16:17]
	v_add_f64 v[246:247], v[22:23], v[18:19]
	v_mul_f64 v[20:21], v[8:9], s[0:1]
	v_mul_f64 v[22:23], v[10:11], s[0:1]
	v_fma_f64 v[8:9], v[8:9], s[0:1], v[0:1]
	v_fma_f64 v[10:11], v[10:11], s[0:1], v[2:3]
	v_fma_f64 v[0:1], v[32:33], s[16:17], -v[0:1]
	v_fma_f64 v[2:3], v[34:35], s[16:17], -v[2:3]
	;; [unrolled: 1-line block ×4, first 2 shown]
	v_fma_f64 v[16:17], v[16:17], s[20:21], v[244:245]
	v_fma_f64 v[18:19], v[18:19], s[20:21], v[246:247]
	v_fma_f64 v[20:21], v[32:33], s[14:15], -v[20:21]
	v_fma_f64 v[22:23], v[34:35], s[14:15], -v[22:23]
	v_fma_f64 v[32:33], v[24:25], s[22:23], v[28:29]
	v_fma_f64 v[34:35], v[26:27], s[22:23], v[30:31]
	v_fma_f64 v[24:25], v[24:25], s[26:27], -v[36:37]
	v_fma_f64 v[26:27], v[26:27], s[26:27], -v[38:39]
	v_fma_f64 v[12:13], v[4:5], s[18:19], v[12:13]
	v_fma_f64 v[14:15], v[6:7], s[18:19], v[14:15]
	v_add_f64 v[36:37], v[100:101], v[108:109]
	v_add_f64 v[38:39], v[106:107], v[110:111]
	;; [unrolled: 1-line block ×8, first 2 shown]
	v_fma_f64 v[20:21], v[4:5], s[18:19], v[32:33]
	v_fma_f64 v[22:23], v[6:7], s[18:19], v[34:35]
	;; [unrolled: 1-line block ×4, first 2 shown]
	v_add_f64 v[32:33], v[98:99], -v[112:113]
	v_add_f64 v[34:35], v[104:105], -v[114:115]
	v_add_f64 v[4:5], v[8:9], -v[14:15]
	v_add_f64 v[6:7], v[12:13], v[10:11]
	v_add_f64 v[8:9], v[14:15], v[8:9]
	v_add_f64 v[10:11], v[10:11], -v[12:13]
	v_add_f64 v[254:255], v[30:31], -v[20:21]
	v_add_f64 v[252:253], v[22:23], v[28:29]
	v_add_f64 v[2:3], v[18:19], -v[24:25]
	v_add_f64 v[0:1], v[26:27], v[16:17]
	;; [unrolled: 2-line block ×4, first 2 shown]
	v_add_f64 v[20:21], v[96:97], v[116:117]
	v_add_f64 v[22:23], v[102:103], v[118:119]
	v_add_f64 v[28:29], v[98:99], v[112:113]
	v_add_f64 v[30:31], v[104:105], v[114:115]
	v_add_f64 v[24:25], v[96:97], -v[116:117]
	v_add_f64 v[26:27], v[102:103], -v[118:119]
	;; [unrolled: 1-line block ×6, first 2 shown]
	v_add_f64 v[52:53], v[28:29], v[20:21]
	v_add_f64 v[54:55], v[30:31], v[22:23]
	v_add_f64 v[96:97], v[28:29], -v[20:21]
	v_add_f64 v[98:99], v[30:31], -v[22:23]
	;; [unrolled: 1-line block ×4, first 2 shown]
	v_add_f64 v[20:21], v[40:41], v[32:33]
	v_add_f64 v[22:23], v[42:43], v[34:35]
	v_add_f64 v[32:33], v[32:33], -v[24:25]
	v_add_f64 v[34:35], v[34:35], -v[26:27]
	;; [unrolled: 1-line block ×4, first 2 shown]
	v_mul_f64 v[104:105], v[104:105], s[6:7]
	v_mul_f64 v[106:107], v[106:107], s[6:7]
	v_add_f64 v[36:37], v[36:37], v[52:53]
	v_add_f64 v[38:39], v[38:39], v[54:55]
	v_mul_f64 v[52:53], v[100:101], s[24:25]
	v_mul_f64 v[54:55], v[102:103], s[24:25]
	v_mul_f64 v[100:101], v[28:29], s[0:1]
	v_mul_f64 v[102:103], v[30:31], s[0:1]
	v_add_f64 v[24:25], v[20:21], v[24:25]
	v_add_f64 v[26:27], v[22:23], v[26:27]
	v_mul_f64 v[108:109], v[32:33], s[4:5]
	v_mul_f64 v[110:111], v[34:35], s[4:5]
	v_fma_f64 v[32:33], v[32:33], s[4:5], -v[104:105]
	v_fma_f64 v[34:35], v[34:35], s[4:5], -v[106:107]
	v_add_f64 v[20:21], v[248:249], v[36:37]
	v_add_f64 v[22:23], v[250:251], v[38:39]
	v_fma_f64 v[28:29], v[28:29], s[0:1], v[52:53]
	v_fma_f64 v[30:31], v[30:31], s[0:1], v[54:55]
	v_fma_f64 v[100:101], v[96:97], s[14:15], -v[100:101]
	v_fma_f64 v[102:103], v[98:99], s[14:15], -v[102:103]
	;; [unrolled: 1-line block ×4, first 2 shown]
	v_fma_f64 v[96:97], v[40:41], s[22:23], v[104:105]
	v_fma_f64 v[98:99], v[42:43], s[22:23], v[106:107]
	v_fma_f64 v[40:41], v[40:41], s[26:27], -v[108:109]
	v_fma_f64 v[42:43], v[42:43], s[26:27], -v[110:111]
	v_fma_f64 v[36:37], v[36:37], s[20:21], v[20:21]
	v_fma_f64 v[38:39], v[38:39], s[20:21], v[22:23]
	;; [unrolled: 1-line block ×5, first 2 shown]
	v_add_f64 v[104:105], v[28:29], v[36:37]
	v_add_f64 v[28:29], v[100:101], v[36:37]
	;; [unrolled: 1-line block ×4, first 2 shown]
	v_fma_f64 v[100:101], v[24:25], s[18:19], v[32:33]
	v_fma_f64 v[24:25], v[26:27], s[18:19], v[42:43]
	v_add_f64 v[106:107], v[30:31], v[38:39]
	v_add_f64 v[30:31], v[102:103], v[38:39]
	v_fma_f64 v[102:103], v[26:27], s[18:19], v[34:35]
	v_add_f64 v[40:41], v[98:99], v[104:105]
	v_add_f64 v[248:249], v[104:105], -v[98:99]
	v_add_f64 v[38:39], v[54:55], -v[108:109]
	v_add_f64 v[26:27], v[108:109], v[54:55]
	v_add_f64 v[36:37], v[24:25], v[52:53]
	v_add_f64 v[24:25], v[52:53], -v[24:25]
	v_add_f64 v[52:53], v[56:57], v[68:69]
	v_add_f64 v[54:55], v[58:59], v[70:71]
	v_add_f64 v[56:57], v[56:57], -v[68:69]
	v_add_f64 v[58:59], v[58:59], -v[70:71]
	v_add_f64 v[68:69], v[48:49], v[64:65]
	v_add_f64 v[70:71], v[46:47], v[66:67]
	v_add_f64 v[48:49], v[48:49], -v[64:65]
	;; [unrolled: 4-line block ×3, first 2 shown]
	v_add_f64 v[50:51], v[62:63], -v[50:51]
	v_add_f64 v[42:43], v[106:107], -v[96:97]
	v_add_f64 v[32:33], v[28:29], -v[102:103]
	v_add_f64 v[34:35], v[100:101], v[30:31]
	v_add_f64 v[28:29], v[102:103], v[28:29]
	v_add_f64 v[30:31], v[30:31], -v[100:101]
	v_add_f64 v[250:251], v[96:97], v[106:107]
	v_add_f64 v[60:61], v[68:69], v[52:53]
	;; [unrolled: 1-line block ×3, first 2 shown]
	v_add_f64 v[96:97], v[68:69], -v[52:53]
	v_add_f64 v[98:99], v[70:71], -v[54:55]
	;; [unrolled: 1-line block ×6, first 2 shown]
	v_add_f64 v[100:101], v[44:45], v[48:49]
	v_add_f64 v[102:103], v[50:51], v[46:47]
	v_add_f64 v[104:105], v[44:45], -v[48:49]
	v_add_f64 v[106:107], v[50:51], -v[46:47]
	;; [unrolled: 1-line block ×6, first 2 shown]
	v_add_f64 v[60:61], v[64:65], v[60:61]
	v_add_f64 v[62:63], v[66:67], v[62:63]
	v_mul_f64 v[52:53], v[52:53], s[24:25]
	v_mul_f64 v[54:55], v[54:55], s[24:25]
	;; [unrolled: 1-line block ×4, first 2 shown]
	v_add_f64 v[56:57], v[100:101], v[56:57]
	v_add_f64 v[58:59], v[102:103], v[58:59]
	v_mul_f64 v[100:101], v[104:105], s[6:7]
	v_mul_f64 v[102:103], v[106:107], s[6:7]
	;; [unrolled: 1-line block ×4, first 2 shown]
	v_add_f64 v[240:241], v[240:241], v[60:61]
	v_add_f64 v[242:243], v[242:243], v[62:63]
	v_fma_f64 v[68:69], v[68:69], s[0:1], v[52:53]
	v_fma_f64 v[70:71], v[70:71], s[0:1], v[54:55]
	v_fma_f64 v[64:65], v[96:97], s[14:15], -v[64:65]
	v_fma_f64 v[66:67], v[98:99], s[14:15], -v[66:67]
	;; [unrolled: 1-line block ×4, first 2 shown]
	v_fma_f64 v[96:97], v[44:45], s[22:23], v[100:101]
	v_fma_f64 v[98:99], v[50:51], s[22:23], v[102:103]
	v_fma_f64 v[48:49], v[48:49], s[4:5], -v[100:101]
	v_fma_f64 v[46:47], v[46:47], s[4:5], -v[102:103]
	;; [unrolled: 1-line block ×4, first 2 shown]
	v_fma_f64 v[60:61], v[60:61], s[20:21], v[240:241]
	v_fma_f64 v[62:63], v[62:63], s[20:21], v[242:243]
	;; [unrolled: 1-line block ×8, first 2 shown]
	v_add_f64 v[100:101], v[68:69], v[60:61]
	v_add_f64 v[102:103], v[70:71], v[62:63]
	;; [unrolled: 1-line block ×7, first 2 shown]
	v_add_f64 v[70:71], v[102:103], -v[96:97]
	v_add_f64 v[60:61], v[104:105], -v[46:47]
	v_add_f64 v[62:63], v[48:49], v[106:107]
	v_add_f64 v[64:65], v[50:51], v[52:53]
	v_add_f64 v[66:67], v[54:55], -v[44:45]
	v_add_f64 v[56:57], v[46:47], v[104:105]
	v_add_f64 v[58:59], v[106:107], -v[48:49]
	v_add_f64 v[48:49], v[52:53], -v[50:51]
	v_add_f64 v[50:51], v[44:45], v[54:55]
	v_add_f64 v[44:45], v[100:101], -v[98:99]
	v_add_f64 v[46:47], v[96:97], v[102:103]
	v_add_f64 v[96:97], v[84:85], v[92:93]
	v_add_f64 v[98:99], v[86:87], v[94:95]
	v_add_f64 v[100:101], v[84:85], -v[92:93]
	v_add_f64 v[84:85], v[86:87], -v[94:95]
	v_add_f64 v[86:87], v[80:81], v[88:89]
	v_add_f64 v[92:93], v[82:83], v[90:91]
	v_add_f64 v[88:89], v[80:81], -v[88:89]
	v_add_f64 v[80:81], v[82:83], -v[90:91]
	v_add_f64 v[52:53], v[72:73], v[76:77]
	v_add_f64 v[54:55], v[74:75], v[78:79]
	;; [unrolled: 4-line block ×3, first 2 shown]
	v_add_f64 v[104:105], v[96:97], -v[52:53]
	v_add_f64 v[106:107], v[98:99], -v[54:55]
	;; [unrolled: 1-line block ×6, first 2 shown]
	v_add_f64 v[108:109], v[82:83], v[88:89]
	v_add_f64 v[110:111], v[90:91], v[80:81]
	v_add_f64 v[78:79], v[82:83], -v[88:89]
	v_add_f64 v[74:75], v[90:91], -v[80:81]
	v_add_f64 v[52:53], v[52:53], v[94:95]
	v_add_f64 v[54:55], v[54:55], v[102:103]
	v_mul_f64 v[94:95], v[104:105], s[24:25]
	v_mul_f64 v[102:103], v[106:107], s[24:25]
	;; [unrolled: 1-line block ×4, first 2 shown]
	v_add_f64 v[90:91], v[108:109], v[100:101]
	v_add_f64 v[82:83], v[110:111], v[84:85]
	v_add_f64 v[236:237], v[236:237], v[52:53]
	v_add_f64 v[238:239], v[238:239], v[54:55]
	v_fma_f64 v[108:109], v[72:73], s[0:1], v[94:95]
	v_fma_f64 v[110:111], v[76:77], s[0:1], v[102:103]
	;; [unrolled: 1-line block ×8, first 2 shown]
	v_add_f64 v[108:109], v[108:109], v[52:53]
	v_add_f64 v[110:111], v[110:111], v[54:55]
	v_add_f64 v[116:117], v[108:109], -v[112:113]
	v_add_f64 v[118:119], v[114:115], v[110:111]
	buffer_store_dword v116, off, s[28:31], 0 offset:4 ; 4-byte Folded Spill
	buffer_store_dword v117, off, s[28:31], 0 offset:8 ; 4-byte Folded Spill
	;; [unrolled: 1-line block ×4, first 2 shown]
	ds_write_b128 v138, v[244:247]
	ds_write_b128 v138, v[252:255] offset:3888
	ds_write_b128 v138, v[0:3] offset:7776
	;; [unrolled: 1-line block ×20, first 2 shown]
	s_and_saveexec_b32 s20, vcc_lo
	s_cbranch_execz .LBB0_5
; %bb.4:
	v_add_f64 v[0:1], v[88:89], -v[100:101]
	v_add_f64 v[2:3], v[92:93], -v[98:99]
	v_mul_f64 v[4:5], v[76:77], s[0:1]
	v_mul_f64 v[6:7], v[78:79], s[6:7]
	v_add_f64 v[8:9], v[86:87], -v[96:97]
	v_add_f64 v[10:11], v[80:81], -v[84:85]
	v_mul_f64 v[12:13], v[72:73], s[0:1]
	v_mul_f64 v[14:15], v[74:75], s[6:7]
	s_mov_b32 s1, 0xbfebfeb5
	s_mov_b32 s0, s4
	v_mul_f64 v[16:17], v[90:91], s[18:19]
	v_mul_f64 v[18:19], v[82:83], s[18:19]
	v_fma_f64 v[20:21], v[0:1], s[0:1], -v[106:107]
	v_fma_f64 v[22:23], v[2:3], s[16:17], -v[102:103]
	;; [unrolled: 1-line block ×8, first 2 shown]
	v_add_f64 v[12:13], v[16:17], v[20:21]
	v_add_f64 v[20:21], v[22:23], v[54:55]
	v_add_f64 v[14:15], v[2:3], v[54:55]
	v_add_f64 v[16:17], v[16:17], v[0:1]
	v_add_f64 v[4:5], v[4:5], v[52:53]
	v_add_f64 v[22:23], v[18:19], v[6:7]
	v_add_f64 v[8:9], v[8:9], v[52:53]
	v_add_f64 v[24:25], v[18:19], v[10:11]
	v_add_f64 v[2:3], v[110:111], -v[114:115]
	v_add_f64 v[0:1], v[112:113], v[108:109]
	v_add_f64 v[18:19], v[20:21], -v[12:13]
	v_add_f64 v[6:7], v[12:13], v[20:21]
	;; [unrolled: 2-line block ×3, first 2 shown]
	v_add_f64 v[16:17], v[22:23], v[4:5]
	v_add_f64 v[4:5], v[4:5], -v[22:23]
	v_add_f64 v[12:13], v[8:9], -v[24:25]
	v_add_f64 v[8:9], v[24:25], v[8:9]
	ds_write_b128 v138, v[236:239] offset:3024
	ds_write_b128 v138, v[0:3] offset:6912
	;; [unrolled: 1-line block ×6, first 2 shown]
	s_clause 0x3
	buffer_load_dword v0, off, s[28:31], 0 offset:4
	buffer_load_dword v1, off, s[28:31], 0 offset:8
	buffer_load_dword v2, off, s[28:31], 0 offset:12
	buffer_load_dword v3, off, s[28:31], 0 offset:16
	s_waitcnt vmcnt(0)
	ds_write_b128 v138, v[0:3] offset:26352
.LBB0_5:
	s_or_b32 exec_lo, exec_lo, s20
	buffer_load_dword v0, off, s[28:31], 0  ; 4-byte Folded Reload
	s_waitcnt vmcnt(0) lgkmcnt(0)
	s_waitcnt_vscnt null, 0x0
	s_barrier
	buffer_gl0_inv
	s_mov_b32 s5, 0x3febb67a
	v_lshlrev_b32_e32 v0, 4, v0
	v_add_co_u32 v8, s0, s12, v0
	v_add_co_ci_u32_e64 v9, null, s13, 0, s0
	ds_read_b128 v[0:3], v138
	v_add_co_u32 v18, s0, 0x6a50, v8
	v_add_co_ci_u32_e64 v19, s0, 0, v9, s0
	v_add_co_u32 v4, s0, 0x6800, v8
	v_add_co_ci_u32_e64 v5, s0, 0, v9, s0
	global_load_dwordx4 v[4:7], v[4:5], off offset:592
	s_waitcnt vmcnt(0) lgkmcnt(0)
	v_mul_f64 v[10:11], v[2:3], v[6:7]
	v_fma_f64 v[10:11], v[0:1], v[4:5], -v[10:11]
	v_mul_f64 v[0:1], v[0:1], v[6:7]
	v_add_co_u32 v6, s0, 0x8800, v8
	v_add_co_ci_u32_e64 v7, s0, 0, v9, s0
	v_fma_f64 v[12:13], v[2:3], v[4:5], v[0:1]
	ds_read_b128 v[0:3], v138 offset:9072
	ds_write_b128 v138, v[10:13]
	global_load_dwordx4 v[10:13], v[6:7], off offset:1472
	s_waitcnt vmcnt(0) lgkmcnt(1)
	v_mul_f64 v[4:5], v[2:3], v[12:13]
	v_fma_f64 v[14:15], v[0:1], v[10:11], -v[4:5]
	v_mul_f64 v[0:1], v[0:1], v[12:13]
	v_add_co_u32 v4, s0, 0xb000, v8
	v_add_co_ci_u32_e64 v5, s0, 0, v9, s0
	v_add_co_u32 v20, s0, 0x9000, v8
	v_add_co_ci_u32_e64 v21, s0, 0, v9, s0
	v_fma_f64 v[16:17], v[2:3], v[10:11], v[0:1]
	global_load_dwordx4 v[10:13], v[4:5], off offset:304
	ds_read_b128 v[0:3], v138 offset:18144
	ds_write_b128 v138, v[14:17] offset:9072
	s_waitcnt vmcnt(0) lgkmcnt(1)
	v_mul_f64 v[14:15], v[2:3], v[12:13]
	v_fma_f64 v[14:15], v[0:1], v[10:11], -v[14:15]
	v_mul_f64 v[0:1], v[0:1], v[12:13]
	v_fma_f64 v[16:17], v[2:3], v[10:11], v[0:1]
	global_load_dwordx4 v[10:13], v[18:19], off offset:1008
	ds_read_b128 v[0:3], v138 offset:1008
	ds_write_b128 v138, v[14:17] offset:18144
	s_waitcnt vmcnt(0) lgkmcnt(1)
	v_mul_f64 v[14:15], v[2:3], v[12:13]
	v_fma_f64 v[14:15], v[0:1], v[10:11], -v[14:15]
	v_mul_f64 v[0:1], v[0:1], v[12:13]
	;; [unrolled: 8-line block ×6, first 2 shown]
	v_add_co_u32 v4, s0, 0xb800, v8
	v_add_co_ci_u32_e64 v5, s0, 0, v9, s0
	v_fma_f64 v[16:17], v[2:3], v[10:11], v[0:1]
	global_load_dwordx4 v[10:13], v[4:5], off offset:272
	ds_read_b128 v[0:3], v138 offset:20160
	ds_write_b128 v138, v[14:17] offset:11088
	s_waitcnt vmcnt(0) lgkmcnt(1)
	v_mul_f64 v[14:15], v[2:3], v[12:13]
	v_fma_f64 v[14:15], v[0:1], v[10:11], -v[14:15]
	v_mul_f64 v[0:1], v[0:1], v[12:13]
	v_fma_f64 v[16:17], v[2:3], v[10:11], v[0:1]
	v_add_co_u32 v10, s0, 0x7000, v8
	v_add_co_ci_u32_e64 v11, s0, 0, v9, s0
	ds_read_b128 v[0:3], v138 offset:3024
	v_add_co_u32 v18, s0, 0x9800, v8
	global_load_dwordx4 v[10:13], v[10:11], off offset:1568
	v_add_co_ci_u32_e64 v19, s0, 0, v9, s0
	ds_write_b128 v138, v[14:17] offset:20160
	s_waitcnt vmcnt(0) lgkmcnt(1)
	v_mul_f64 v[14:15], v[2:3], v[12:13]
	v_fma_f64 v[14:15], v[0:1], v[10:11], -v[14:15]
	v_mul_f64 v[0:1], v[0:1], v[12:13]
	v_fma_f64 v[16:17], v[2:3], v[10:11], v[0:1]
	global_load_dwordx4 v[10:13], v[18:19], off offset:400
	ds_read_b128 v[0:3], v138 offset:12096
	ds_write_b128 v138, v[14:17] offset:3024
	s_waitcnt vmcnt(0) lgkmcnt(1)
	v_mul_f64 v[14:15], v[2:3], v[12:13]
	v_fma_f64 v[14:15], v[0:1], v[10:11], -v[14:15]
	v_mul_f64 v[0:1], v[0:1], v[12:13]
	v_fma_f64 v[16:17], v[2:3], v[10:11], v[0:1]
	global_load_dwordx4 v[10:13], v[4:5], off offset:1280
	ds_read_b128 v[0:3], v138 offset:21168
	ds_write_b128 v138, v[14:17] offset:12096
	s_waitcnt vmcnt(0) lgkmcnt(1)
	v_mul_f64 v[4:5], v[2:3], v[12:13]
	v_fma_f64 v[14:15], v[0:1], v[10:11], -v[4:5]
	v_mul_f64 v[0:1], v[0:1], v[12:13]
	v_add_co_u32 v4, s0, 0x7800, v8
	v_add_co_ci_u32_e64 v5, s0, 0, v9, s0
	v_fma_f64 v[16:17], v[2:3], v[10:11], v[0:1]
	global_load_dwordx4 v[10:13], v[4:5], off offset:528
	ds_read_b128 v[0:3], v138 offset:4032
	ds_write_b128 v138, v[14:17] offset:21168
	s_waitcnt vmcnt(0) lgkmcnt(1)
	v_mul_f64 v[14:15], v[2:3], v[12:13]
	v_fma_f64 v[14:15], v[0:1], v[10:11], -v[14:15]
	v_mul_f64 v[0:1], v[0:1], v[12:13]
	v_fma_f64 v[16:17], v[2:3], v[10:11], v[0:1]
	global_load_dwordx4 v[10:13], v[18:19], off offset:1408
	ds_read_b128 v[0:3], v138 offset:13104
	v_add_co_u32 v18, s0, 0xc000, v8
	v_add_co_ci_u32_e64 v19, s0, 0, v9, s0
	ds_write_b128 v138, v[14:17] offset:4032
	s_waitcnt vmcnt(0) lgkmcnt(1)
	v_mul_f64 v[14:15], v[2:3], v[12:13]
	v_fma_f64 v[14:15], v[0:1], v[10:11], -v[14:15]
	v_mul_f64 v[0:1], v[0:1], v[12:13]
	v_fma_f64 v[16:17], v[2:3], v[10:11], v[0:1]
	global_load_dwordx4 v[10:13], v[18:19], off offset:240
	ds_read_b128 v[0:3], v138 offset:22176
	ds_write_b128 v138, v[14:17] offset:13104
	s_waitcnt vmcnt(0) lgkmcnt(1)
	v_mul_f64 v[14:15], v[2:3], v[12:13]
	v_fma_f64 v[14:15], v[0:1], v[10:11], -v[14:15]
	v_mul_f64 v[0:1], v[0:1], v[12:13]
	v_fma_f64 v[16:17], v[2:3], v[10:11], v[0:1]
	global_load_dwordx4 v[10:13], v[4:5], off offset:1536
	ds_read_b128 v[0:3], v138 offset:5040
	ds_write_b128 v138, v[14:17] offset:22176
	s_waitcnt vmcnt(0) lgkmcnt(1)
	v_mul_f64 v[4:5], v[2:3], v[12:13]
	v_fma_f64 v[14:15], v[0:1], v[10:11], -v[4:5]
	v_mul_f64 v[0:1], v[0:1], v[12:13]
	v_add_co_u32 v4, s0, 0xa000, v8
	v_add_co_ci_u32_e64 v5, s0, 0, v9, s0
	v_fma_f64 v[16:17], v[2:3], v[10:11], v[0:1]
	global_load_dwordx4 v[10:13], v[4:5], off offset:368
	ds_read_b128 v[0:3], v138 offset:14112
	ds_write_b128 v138, v[14:17] offset:5040
	s_waitcnt vmcnt(0) lgkmcnt(1)
	v_mul_f64 v[14:15], v[2:3], v[12:13]
	v_fma_f64 v[14:15], v[0:1], v[10:11], -v[14:15]
	v_mul_f64 v[0:1], v[0:1], v[12:13]
	v_fma_f64 v[16:17], v[2:3], v[10:11], v[0:1]
	global_load_dwordx4 v[10:13], v[18:19], off offset:1248
	ds_read_b128 v[0:3], v138 offset:23184
	v_add_co_u32 v18, s0, 0x8000, v8
	v_add_co_ci_u32_e64 v19, s0, 0, v9, s0
	v_add_co_u32 v20, s0, 0xc800, v8
	v_add_co_ci_u32_e64 v21, s0, 0, v9, s0
	ds_write_b128 v138, v[14:17] offset:14112
	s_waitcnt vmcnt(0) lgkmcnt(1)
	v_mul_f64 v[14:15], v[2:3], v[12:13]
	v_fma_f64 v[14:15], v[0:1], v[10:11], -v[14:15]
	v_mul_f64 v[0:1], v[0:1], v[12:13]
	v_fma_f64 v[16:17], v[2:3], v[10:11], v[0:1]
	global_load_dwordx4 v[10:13], v[18:19], off offset:496
	ds_read_b128 v[0:3], v138 offset:6048
	ds_write_b128 v138, v[14:17] offset:23184
	s_waitcnt vmcnt(0) lgkmcnt(1)
	v_mul_f64 v[14:15], v[2:3], v[12:13]
	v_fma_f64 v[14:15], v[0:1], v[10:11], -v[14:15]
	v_mul_f64 v[0:1], v[0:1], v[12:13]
	v_fma_f64 v[16:17], v[2:3], v[10:11], v[0:1]
	global_load_dwordx4 v[10:13], v[4:5], off offset:1376
	ds_read_b128 v[0:3], v138 offset:15120
	;; [unrolled: 8-line block ×4, first 2 shown]
	ds_write_b128 v138, v[14:17] offset:24192
	s_waitcnt vmcnt(0) lgkmcnt(1)
	v_mul_f64 v[4:5], v[2:3], v[12:13]
	v_fma_f64 v[14:15], v[0:1], v[10:11], -v[4:5]
	v_mul_f64 v[0:1], v[0:1], v[12:13]
	v_add_co_u32 v4, s0, 0xa800, v8
	v_add_co_ci_u32_e64 v5, s0, 0, v9, s0
	v_fma_f64 v[16:17], v[2:3], v[10:11], v[0:1]
	global_load_dwordx4 v[10:13], v[4:5], off offset:336
	ds_read_b128 v[0:3], v138 offset:16128
	ds_write_b128 v138, v[14:17] offset:7056
	s_waitcnt vmcnt(0) lgkmcnt(1)
	v_mul_f64 v[14:15], v[2:3], v[12:13]
	v_fma_f64 v[14:15], v[0:1], v[10:11], -v[14:15]
	v_mul_f64 v[0:1], v[0:1], v[12:13]
	v_fma_f64 v[16:17], v[2:3], v[10:11], v[0:1]
	global_load_dwordx4 v[10:13], v[20:21], off offset:1216
	ds_read_b128 v[0:3], v138 offset:25200
	ds_write_b128 v138, v[14:17] offset:16128
	s_waitcnt vmcnt(0) lgkmcnt(1)
	v_mul_f64 v[14:15], v[2:3], v[12:13]
	v_fma_f64 v[14:15], v[0:1], v[10:11], -v[14:15]
	v_mul_f64 v[0:1], v[0:1], v[12:13]
	v_fma_f64 v[16:17], v[2:3], v[10:11], v[0:1]
	global_load_dwordx4 v[10:13], v[6:7], off offset:464
	ds_read_b128 v[0:3], v138 offset:8064
	ds_write_b128 v138, v[14:17] offset:25200
	s_waitcnt vmcnt(0) lgkmcnt(1)
	v_mul_f64 v[6:7], v[2:3], v[12:13]
	v_fma_f64 v[14:15], v[0:1], v[10:11], -v[6:7]
	global_load_dwordx4 v[4:7], v[4:5], off offset:1344
	v_mul_f64 v[0:1], v[0:1], v[12:13]
	v_fma_f64 v[16:17], v[2:3], v[10:11], v[0:1]
	ds_read_b128 v[0:3], v138 offset:17136
	ds_write_b128 v138, v[14:17] offset:8064
	s_waitcnt vmcnt(0) lgkmcnt(1)
	v_mul_f64 v[10:11], v[2:3], v[6:7]
	v_fma_f64 v[10:11], v[0:1], v[4:5], -v[10:11]
	v_mul_f64 v[0:1], v[0:1], v[6:7]
	v_fma_f64 v[12:13], v[2:3], v[4:5], v[0:1]
	v_add_co_u32 v4, s0, 0xd000, v8
	v_add_co_ci_u32_e64 v5, s0, 0, v9, s0
	ds_read_b128 v[0:3], v138 offset:26208
	s_mov_b32 s0, 0xe8584caa
	s_mov_b32 s1, 0xbfebb67a
	global_load_dwordx4 v[4:7], v[4:5], off offset:176
	s_mov_b32 s4, s0
	ds_write_b128 v138, v[10:13] offset:17136
	s_waitcnt vmcnt(0) lgkmcnt(1)
	v_mul_f64 v[8:9], v[2:3], v[6:7]
	v_fma_f64 v[8:9], v[0:1], v[4:5], -v[8:9]
	v_mul_f64 v[0:1], v[0:1], v[6:7]
	v_fma_f64 v[10:11], v[2:3], v[4:5], v[0:1]
	ds_write_b128 v138, v[8:11] offset:26208
	s_waitcnt lgkmcnt(0)
	s_barrier
	buffer_gl0_inv
	ds_read_b128 v[48:51], v138
	ds_read_b128 v[52:55], v138 offset:9072
	ds_read_b128 v[64:67], v138 offset:18144
	;; [unrolled: 1-line block ×26, first 2 shown]
	s_waitcnt lgkmcnt(25)
	v_add_f64 v[56:57], v[48:49], v[52:53]
	s_waitcnt lgkmcnt(24)
	v_add_f64 v[58:59], v[54:55], -v[66:67]
	s_waitcnt lgkmcnt(0)
	s_barrier
	buffer_gl0_inv
	v_add_f64 v[60:61], v[56:57], v[64:65]
	v_add_f64 v[56:57], v[52:53], v[64:65]
	v_add_f64 v[52:53], v[52:53], -v[64:65]
	v_fma_f64 v[48:49], v[56:57], -0.5, v[48:49]
	v_fma_f64 v[56:57], v[58:59], s[0:1], v[48:49]
	v_fma_f64 v[48:49], v[58:59], s[4:5], v[48:49]
	v_add_f64 v[58:59], v[50:51], v[54:55]
	v_add_f64 v[54:55], v[54:55], v[66:67]
	;; [unrolled: 1-line block ×3, first 2 shown]
	v_fma_f64 v[50:51], v[54:55], -0.5, v[50:51]
	v_add_f64 v[54:55], v[102:103], -v[106:107]
	v_fma_f64 v[58:59], v[52:53], s[4:5], v[50:51]
	v_fma_f64 v[50:51], v[52:53], s[0:1], v[50:51]
	v_add_f64 v[52:53], v[76:77], v[100:101]
	v_add_f64 v[244:245], v[52:53], v[104:105]
	;; [unrolled: 1-line block ×3, first 2 shown]
	v_fma_f64 v[52:53], v[52:53], -0.5, v[76:77]
	v_fma_f64 v[240:241], v[54:55], s[0:1], v[52:53]
	v_fma_f64 v[64:65], v[54:55], s[4:5], v[52:53]
	v_add_f64 v[52:53], v[78:79], v[102:103]
	v_add_f64 v[54:55], v[100:101], -v[104:105]
	v_add_f64 v[246:247], v[52:53], v[106:107]
	v_add_f64 v[52:53], v[102:103], v[106:107]
	v_fma_f64 v[52:53], v[52:53], -0.5, v[78:79]
	v_fma_f64 v[242:243], v[54:55], s[4:5], v[52:53]
	v_fma_f64 v[66:67], v[54:55], s[0:1], v[52:53]
	v_add_f64 v[52:53], v[72:73], v[92:93]
	v_add_f64 v[54:55], v[94:95], -v[98:99]
	v_add_f64 v[76:77], v[52:53], v[96:97]
	v_add_f64 v[52:53], v[92:93], v[96:97]
	;; [unrolled: 7-line block ×6, first 2 shown]
	v_fma_f64 v[52:53], v[52:53], -0.5, v[248:249]
	v_fma_f64 v[84:85], v[54:55], s[0:1], v[52:53]
	v_fma_f64 v[80:81], v[54:55], s[4:5], v[52:53]
	v_add_f64 v[52:53], v[250:251], v[70:71]
	v_add_f64 v[54:55], v[68:69], -v[236:237]
	v_add_f64 v[68:69], v[38:39], -v[42:43]
	v_add_f64 v[102:103], v[52:53], v[238:239]
	v_add_f64 v[52:53], v[70:71], v[238:239]
	v_fma_f64 v[52:53], v[52:53], -0.5, v[250:251]
	v_fma_f64 v[86:87], v[54:55], s[4:5], v[52:53]
	v_fma_f64 v[82:83], v[54:55], s[0:1], v[52:53]
	v_add_f64 v[54:55], v[36:37], v[40:41]
	v_add_f64 v[52:53], v[44:45], v[36:37]
	v_add_f64 v[36:37], v[36:37], -v[40:41]
	v_fma_f64 v[54:55], v[54:55], -0.5, v[44:45]
	v_add_f64 v[52:53], v[52:53], v[40:41]
	v_add_f64 v[40:41], v[26:27], -v[30:31]
	v_fma_f64 v[44:45], v[68:69], s[0:1], v[54:55]
	v_fma_f64 v[68:69], v[68:69], s[4:5], v[54:55]
	v_add_f64 v[54:55], v[46:47], v[38:39]
	v_add_f64 v[38:39], v[38:39], v[42:43]
	v_add_f64 v[54:55], v[54:55], v[42:43]
	v_fma_f64 v[38:39], v[38:39], -0.5, v[46:47]
	v_fma_f64 v[46:47], v[36:37], s[4:5], v[38:39]
	v_fma_f64 v[70:71], v[36:37], s[0:1], v[38:39]
	v_add_f64 v[38:39], v[24:25], v[28:29]
	v_add_f64 v[36:37], v[32:33], v[24:25]
	v_add_f64 v[24:25], v[24:25], -v[28:29]
	v_fma_f64 v[38:39], v[38:39], -0.5, v[32:33]
	v_add_f64 v[36:37], v[36:37], v[28:29]
	v_add_f64 v[28:29], v[14:15], -v[18:19]
	v_fma_f64 v[32:33], v[40:41], s[0:1], v[38:39]
	v_fma_f64 v[40:41], v[40:41], s[4:5], v[38:39]
	v_add_f64 v[38:39], v[34:35], v[26:27]
	;; [unrolled: 14-line block ×3, first 2 shown]
	v_add_f64 v[14:15], v[14:15], v[18:19]
	v_add_f64 v[26:27], v[26:27], v[18:19]
	v_fma_f64 v[14:15], v[14:15], -0.5, v[22:23]
	v_fma_f64 v[22:23], v[12:13], s[4:5], v[14:15]
	v_fma_f64 v[30:31], v[12:13], s[0:1], v[14:15]
	v_add_f64 v[14:15], v[0:1], v[4:5]
	v_add_f64 v[12:13], v[8:9], v[0:1]
	v_add_f64 v[0:1], v[0:1], -v[4:5]
	v_fma_f64 v[14:15], v[14:15], -0.5, v[8:9]
	v_add_f64 v[12:13], v[12:13], v[4:5]
	v_fma_f64 v[8:9], v[16:17], s[0:1], v[14:15]
	v_fma_f64 v[16:17], v[16:17], s[4:5], v[14:15]
	v_add_f64 v[14:15], v[10:11], v[2:3]
	v_add_f64 v[2:3], v[2:3], v[6:7]
	;; [unrolled: 1-line block ×3, first 2 shown]
	v_fma_f64 v[2:3], v[2:3], -0.5, v[10:11]
	v_fma_f64 v[10:11], v[0:1], s[4:5], v[2:3]
	v_fma_f64 v[18:19], v[0:1], s[0:1], v[2:3]
	buffer_load_dword v0, off, s[28:31], 0 offset:1652 ; 4-byte Folded Reload
	s_waitcnt vmcnt(0)
	ds_write_b128 v0, v[60:63]
	ds_write_b128 v0, v[56:59] offset:16
	ds_write_b128 v0, v[48:51] offset:32
	buffer_load_dword v0, off, s[28:31], 0 offset:1684 ; 4-byte Folded Reload
	s_waitcnt vmcnt(0)
	ds_write_b128 v0, v[244:247]
	ds_write_b128 v0, v[240:243] offset:16
	ds_write_b128 v0, v[64:67] offset:32
	;; [unrolled: 5-line block ×9, first 2 shown]
	s_waitcnt lgkmcnt(0)
	s_barrier
	buffer_gl0_inv
	ds_read_b128 v[28:31], v138
	ds_read_b128 v[32:35], v138 offset:9072
	ds_read_b128 v[36:39], v138 offset:18144
	;; [unrolled: 1-line block ×26, first 2 shown]
	s_waitcnt lgkmcnt(25)
	v_mul_f64 v[108:109], v[198:199], v[34:35]
	s_waitcnt lgkmcnt(0)
	s_barrier
	buffer_gl0_inv
	v_fma_f64 v[108:109], v[196:197], v[32:33], v[108:109]
	v_mul_f64 v[32:33], v[198:199], v[32:33]
	v_fma_f64 v[32:33], v[196:197], v[34:35], -v[32:33]
	v_mul_f64 v[34:35], v[186:187], v[38:39]
	v_fma_f64 v[34:35], v[184:185], v[36:37], v[34:35]
	v_mul_f64 v[36:37], v[186:187], v[36:37]
	v_fma_f64 v[36:37], v[184:185], v[38:39], -v[36:37]
	v_mul_f64 v[38:39], v[174:175], v[42:43]
	;; [unrolled: 4-line block ×17, first 2 shown]
	v_fma_f64 v[102:103], v[232:233], v[104:105], v[62:63]
	v_mul_f64 v[62:63], v[234:235], v[104:105]
	v_fma_f64 v[104:105], v[232:233], v[106:107], -v[62:63]
	v_add_f64 v[62:63], v[28:29], v[108:109]
	v_add_f64 v[168:169], v[62:63], v[34:35]
	v_add_f64 v[62:63], v[108:109], v[34:35]
	v_fma_f64 v[28:29], v[62:63], -0.5, v[28:29]
	v_add_f64 v[62:63], v[32:33], -v[36:37]
	v_fma_f64 v[180:181], v[62:63], s[0:1], v[28:29]
	v_fma_f64 v[172:173], v[62:63], s[4:5], v[28:29]
	v_add_f64 v[28:29], v[30:31], v[32:33]
	v_add_f64 v[170:171], v[28:29], v[36:37]
	v_add_f64 v[28:29], v[32:33], v[36:37]
	v_fma_f64 v[28:29], v[28:29], -0.5, v[30:31]
	v_add_f64 v[30:31], v[108:109], -v[34:35]
	v_fma_f64 v[182:183], v[30:31], s[4:5], v[28:29]
	v_fma_f64 v[174:175], v[30:31], s[0:1], v[28:29]
	;; [unrolled: 7-line block ×5, first 2 shown]
	v_add_f64 v[20:21], v[22:23], v[48:49]
	v_add_f64 v[166:167], v[20:21], v[52:53]
	;; [unrolled: 1-line block ×3, first 2 shown]
	v_add_f64 v[52:53], v[98:99], -v[102:103]
	v_fma_f64 v[20:21], v[20:21], -0.5, v[22:23]
	v_add_f64 v[22:23], v[46:47], -v[50:51]
	v_fma_f64 v[162:163], v[22:23], s[4:5], v[20:21]
	v_fma_f64 v[154:155], v[22:23], s[0:1], v[20:21]
	v_add_f64 v[20:21], v[16:17], v[54:55]
	v_add_f64 v[148:149], v[20:21], v[58:59]
	v_add_f64 v[20:21], v[54:55], v[58:59]
	v_fma_f64 v[16:17], v[20:21], -0.5, v[16:17]
	v_add_f64 v[20:21], v[56:57], -v[60:61]
	v_fma_f64 v[68:69], v[20:21], s[0:1], v[16:17]
	v_fma_f64 v[64:65], v[20:21], s[4:5], v[16:17]
	v_add_f64 v[16:17], v[18:19], v[56:57]
	v_add_f64 v[150:151], v[16:17], v[60:61]
	v_add_f64 v[16:17], v[56:57], v[60:61]
	;; [unrolled: 7-line block ×10, first 2 shown]
	v_fma_f64 v[0:1], v[0:1], -0.5, v[2:3]
	v_add_f64 v[2:3], v[90:91], -v[94:95]
	v_fma_f64 v[18:19], v[2:3], s[4:5], v[0:1]
	v_fma_f64 v[14:15], v[2:3], s[0:1], v[0:1]
	v_add_f64 v[0:1], v[72:73], v[98:99]
	v_add_f64 v[2:3], v[100:101], -v[104:105]
	v_add_f64 v[8:9], v[0:1], v[102:103]
	v_add_f64 v[0:1], v[98:99], v[102:103]
	v_fma_f64 v[0:1], v[0:1], -0.5, v[72:73]
	v_fma_f64 v[4:5], v[2:3], s[0:1], v[0:1]
	v_fma_f64 v[0:1], v[2:3], s[4:5], v[0:1]
	v_add_f64 v[2:3], v[74:75], v[100:101]
	v_add_f64 v[10:11], v[2:3], v[104:105]
	;; [unrolled: 1-line block ×3, first 2 shown]
	v_fma_f64 v[2:3], v[2:3], -0.5, v[74:75]
	v_fma_f64 v[6:7], v[52:53], s[4:5], v[2:3]
	v_fma_f64 v[2:3], v[52:53], s[0:1], v[2:3]
	buffer_load_dword v52, off, s[28:31], 0 offset:1648 ; 4-byte Folded Reload
	s_waitcnt vmcnt(0)
	ds_write_b128 v52, v[168:171]
	ds_write_b128 v52, v[180:183] offset:48
	ds_write_b128 v52, v[172:175] offset:96
	buffer_load_dword v52, off, s[28:31], 0 offset:1644 ; 4-byte Folded Reload
	s_waitcnt vmcnt(0)
	ds_write_b128 v52, v[192:195]
	ds_write_b128 v52, v[184:187] offset:48
	ds_write_b128 v52, v[176:179] offset:96
	;; [unrolled: 5-line block ×8, first 2 shown]
	ds_write_b128 v133, v[8:11]
	ds_write_b128 v133, v[4:7] offset:48
	ds_write_b128 v133, v[0:3] offset:96
	s_waitcnt lgkmcnt(0)
	s_barrier
	buffer_gl0_inv
	ds_read_b128 v[32:35], v138
	ds_read_b128 v[36:39], v138 offset:9072
	ds_read_b128 v[40:43], v138 offset:18144
	;; [unrolled: 1-line block ×26, first 2 shown]
	s_clause 0x3
	buffer_load_dword v110, off, s[28:31], 0 offset:1444
	buffer_load_dword v111, off, s[28:31], 0 offset:1448
	buffer_load_dword v112, off, s[28:31], 0 offset:1452
	buffer_load_dword v113, off, s[28:31], 0 offset:1456
	s_waitcnt vmcnt(0) lgkmcnt(25)
	v_mul_f64 v[108:109], v[112:113], v[38:39]
	v_fma_f64 v[114:115], v[110:111], v[36:37], v[108:109]
	v_mul_f64 v[36:37], v[112:113], v[36:37]
	v_fma_f64 v[36:37], v[110:111], v[38:39], -v[36:37]
	s_clause 0x3
	buffer_load_dword v108, off, s[28:31], 0 offset:1428
	buffer_load_dword v109, off, s[28:31], 0 offset:1432
	buffer_load_dword v110, off, s[28:31], 0 offset:1436
	buffer_load_dword v111, off, s[28:31], 0 offset:1440
	s_waitcnt vmcnt(0) lgkmcnt(24)
	v_mul_f64 v[38:39], v[110:111], v[42:43]
	v_fma_f64 v[38:39], v[108:109], v[40:41], v[38:39]
	v_mul_f64 v[40:41], v[110:111], v[40:41]
	v_fma_f64 v[40:41], v[108:109], v[42:43], -v[40:41]
	;; [unrolled: 10-line block ×11, first 2 shown]
	s_clause 0x3
	buffer_load_dword v68, off, s[28:31], 0 offset:1620
	buffer_load_dword v69, off, s[28:31], 0 offset:1624
	;; [unrolled: 1-line block ×4, first 2 shown]
	s_waitcnt vmcnt(0) lgkmcnt(0)
	s_barrier
	buffer_gl0_inv
	v_mul_f64 v[64:65], v[70:71], v[82:83]
	v_fma_f64 v[78:79], v[68:69], v[80:81], v[64:65]
	v_mul_f64 v[64:65], v[70:71], v[80:81]
	v_fma_f64 v[80:81], v[68:69], v[82:83], -v[64:65]
	v_mul_f64 v[64:65], v[142:143], v[86:87]
	v_fma_f64 v[82:83], v[140:141], v[84:85], v[64:65]
	v_mul_f64 v[64:65], v[142:143], v[84:85]
	v_fma_f64 v[84:85], v[140:141], v[86:87], -v[64:65]
	;; [unrolled: 4-line block ×7, first 2 shown]
	v_add_f64 v[64:65], v[32:33], v[114:115]
	v_add_f64 v[108:109], v[64:65], v[38:39]
	v_add_f64 v[64:65], v[114:115], v[38:39]
	v_fma_f64 v[32:33], v[64:65], -0.5, v[32:33]
	v_add_f64 v[64:65], v[36:37], -v[40:41]
	v_fma_f64 v[120:121], v[64:65], s[0:1], v[32:33]
	v_fma_f64 v[112:113], v[64:65], s[4:5], v[32:33]
	v_add_f64 v[32:33], v[34:35], v[36:37]
	v_add_f64 v[110:111], v[32:33], v[40:41]
	v_add_f64 v[32:33], v[36:37], v[40:41]
	v_fma_f64 v[32:33], v[32:33], -0.5, v[34:35]
	v_add_f64 v[34:35], v[114:115], -v[38:39]
	v_fma_f64 v[122:123], v[34:35], s[4:5], v[32:33]
	v_fma_f64 v[114:115], v[34:35], s[0:1], v[32:33]
	;; [unrolled: 7-line block ×9, first 2 shown]
	v_add_f64 v[12:13], v[14:15], v[148:149]
	v_add_f64 v[62:63], v[12:13], v[72:73]
	;; [unrolled: 1-line block ×3, first 2 shown]
	v_add_f64 v[72:73], v[134:135], -v[141:142]
	v_fma_f64 v[12:13], v[12:13], -0.5, v[14:15]
	v_add_f64 v[14:15], v[136:137], -v[150:151]
	v_fma_f64 v[58:59], v[14:15], s[4:5], v[12:13]
	v_fma_f64 v[22:23], v[14:15], s[0:1], v[12:13]
	v_add_f64 v[12:13], v[8:9], v[74:75]
	v_add_f64 v[52:53], v[12:13], v[78:79]
	v_add_f64 v[12:13], v[74:75], v[78:79]
	v_fma_f64 v[8:9], v[12:13], -0.5, v[8:9]
	v_add_f64 v[12:13], v[76:77], -v[80:81]
	v_fma_f64 v[48:49], v[12:13], s[0:1], v[8:9]
	v_fma_f64 v[12:13], v[12:13], s[4:5], v[8:9]
	v_add_f64 v[8:9], v[10:11], v[76:77]
	v_add_f64 v[54:55], v[8:9], v[80:81]
	v_add_f64 v[8:9], v[76:77], v[80:81]
	v_fma_f64 v[8:9], v[8:9], -0.5, v[10:11]
	v_add_f64 v[10:11], v[74:75], -v[78:79]
	v_fma_f64 v[50:51], v[10:11], s[4:5], v[8:9]
	v_fma_f64 v[14:15], v[10:11], s[0:1], v[8:9]
	v_add_f64 v[8:9], v[4:5], v[82:83]
	v_add_f64 v[44:45], v[8:9], v[86:87]
	v_add_f64 v[8:9], v[82:83], v[86:87]
	v_fma_f64 v[4:5], v[8:9], -0.5, v[4:5]
	v_add_f64 v[8:9], v[84:85], -v[88:89]
	v_fma_f64 v[40:41], v[8:9], s[0:1], v[4:5]
	v_fma_f64 v[8:9], v[8:9], s[4:5], v[4:5]
	v_add_f64 v[4:5], v[6:7], v[84:85]
	v_add_f64 v[46:47], v[4:5], v[88:89]
	v_add_f64 v[4:5], v[84:85], v[88:89]
	v_fma_f64 v[4:5], v[4:5], -0.5, v[6:7]
	v_add_f64 v[6:7], v[82:83], -v[86:87]
	v_fma_f64 v[42:43], v[6:7], s[4:5], v[4:5]
	v_fma_f64 v[10:11], v[6:7], s[0:1], v[4:5]
	v_add_f64 v[4:5], v[0:1], v[90:91]
	v_add_f64 v[36:37], v[4:5], v[94:95]
	v_add_f64 v[4:5], v[90:91], v[94:95]
	v_fma_f64 v[0:1], v[4:5], -0.5, v[0:1]
	v_add_f64 v[4:5], v[92:93], -v[132:133]
	v_fma_f64 v[28:29], v[4:5], s[0:1], v[0:1]
	v_fma_f64 v[4:5], v[4:5], s[4:5], v[0:1]
	v_add_f64 v[0:1], v[2:3], v[92:93]
	v_add_f64 v[38:39], v[0:1], v[132:133]
	v_add_f64 v[0:1], v[92:93], v[132:133]
	v_fma_f64 v[0:1], v[0:1], -0.5, v[2:3]
	v_add_f64 v[2:3], v[90:91], -v[94:95]
	v_fma_f64 v[30:31], v[2:3], s[4:5], v[0:1]
	v_fma_f64 v[6:7], v[2:3], s[0:1], v[0:1]
	v_add_f64 v[0:1], v[16:17], v[134:135]
	v_add_f64 v[2:3], v[139:140], -v[143:144]
	v_add_f64 v[24:25], v[0:1], v[141:142]
	v_add_f64 v[0:1], v[134:135], v[141:142]
	v_fma_f64 v[0:1], v[0:1], -0.5, v[16:17]
	v_fma_f64 v[16:17], v[2:3], s[0:1], v[0:1]
	v_fma_f64 v[0:1], v[2:3], s[4:5], v[0:1]
	v_add_f64 v[2:3], v[18:19], v[139:140]
	v_add_f64 v[26:27], v[2:3], v[143:144]
	;; [unrolled: 1-line block ×3, first 2 shown]
	v_fma_f64 v[2:3], v[2:3], -0.5, v[18:19]
	v_fma_f64 v[18:19], v[72:73], s[4:5], v[2:3]
	v_fma_f64 v[2:3], v[72:73], s[0:1], v[2:3]
	buffer_load_dword v72, off, s[28:31], 0 offset:1424 ; 4-byte Folded Reload
	s_waitcnt vmcnt(0)
	ds_write_b128 v72, v[108:111]
	ds_write_b128 v72, v[120:123] offset:144
	ds_write_b128 v72, v[112:115] offset:288
	buffer_load_dword v72, off, s[28:31], 0 offset:1420 ; 4-byte Folded Reload
	s_waitcnt vmcnt(0)
	ds_write_b128 v72, v[128:131]
	ds_write_b128 v72, v[124:127] offset:144
	ds_write_b128 v72, v[116:119] offset:288
	buffer_load_dword v72, off, s[28:31], 0 offset:1384 ; 4-byte Folded Reload
	s_waitcnt vmcnt(0)
	ds_write_b128 v72, v[104:107]
	ds_write_b128 v72, v[100:103] offset:144
	ds_write_b128 v72, v[96:99] offset:288
	buffer_load_dword v72, off, s[28:31], 0 offset:1232 ; 4-byte Folded Reload
	s_waitcnt vmcnt(0)
	ds_write_b128 v72, v[68:71]
	ds_write_b128 v72, v[64:67] offset:144
	ds_write_b128 v72, v[32:35] offset:288
	buffer_load_dword v32, off, s[28:31], 0 offset:1236 ; 4-byte Folded Reload
	s_waitcnt vmcnt(0)
	ds_write_b128 v32, v[60:63]
	ds_write_b128 v32, v[56:59] offset:144
	ds_write_b128 v32, v[20:23] offset:288
	buffer_load_dword v20, off, s[28:31], 0 offset:1256 ; 4-byte Folded Reload
	s_waitcnt vmcnt(0)
	ds_write_b128 v20, v[52:55]
	ds_write_b128 v20, v[48:51] offset:144
	ds_write_b128 v20, v[12:15] offset:288
	buffer_load_dword v12, off, s[28:31], 0 offset:1276 ; 4-byte Folded Reload
	s_waitcnt vmcnt(0)
	ds_write_b128 v12, v[44:47]
	ds_write_b128 v12, v[40:43] offset:144
	ds_write_b128 v12, v[8:11] offset:288
	buffer_load_dword v8, off, s[28:31], 0 offset:1280 ; 4-byte Folded Reload
	s_waitcnt vmcnt(0)
	ds_write_b128 v8, v[36:39]
	ds_write_b128 v8, v[28:31] offset:144
	ds_write_b128 v8, v[4:7] offset:288
	buffer_load_dword v4, off, s[28:31], 0 offset:1284 ; 4-byte Folded Reload
	s_waitcnt vmcnt(0)
	ds_write_b128 v4, v[24:27]
	ds_write_b128 v4, v[16:19] offset:144
	ds_write_b128 v4, v[0:3] offset:288
	s_waitcnt lgkmcnt(0)
	s_barrier
	buffer_gl0_inv
	ds_read_b128 v[24:27], v138
	ds_read_b128 v[20:23], v138 offset:9072
	ds_read_b128 v[28:31], v138 offset:18144
	;; [unrolled: 1-line block ×26, first 2 shown]
	s_clause 0x7
	buffer_load_dword v64, off, s[28:31], 0 offset:1104
	buffer_load_dword v65, off, s[28:31], 0 offset:1108
	;; [unrolled: 1-line block ×8, first 2 shown]
	s_waitcnt vmcnt(4) lgkmcnt(25)
	v_mul_f64 v[56:57], v[66:67], v[22:23]
	v_fma_f64 v[56:57], v[64:65], v[20:21], v[56:57]
	v_mul_f64 v[20:21], v[66:67], v[20:21]
	v_fma_f64 v[64:65], v[64:65], v[22:23], -v[20:21]
	s_waitcnt vmcnt(0) lgkmcnt(24)
	v_mul_f64 v[20:21], v[100:101], v[30:31]
	v_fma_f64 v[134:135], v[98:99], v[28:29], v[20:21]
	v_mul_f64 v[20:21], v[100:101], v[28:29]
	v_add_f64 v[22:23], v[56:57], v[134:135]
	v_fma_f64 v[30:31], v[98:99], v[30:31], -v[20:21]
	s_clause 0x3
	buffer_load_dword v98, off, s[28:31], 0 offset:1168
	buffer_load_dword v99, off, s[28:31], 0 offset:1172
	;; [unrolled: 1-line block ×4, first 2 shown]
	v_fma_f64 v[22:23], v[22:23], -0.5, v[24:25]
	s_waitcnt vmcnt(0) lgkmcnt(22)
	v_mul_f64 v[20:21], v[100:101], v[38:39]
	v_fma_f64 v[136:137], v[98:99], v[36:37], v[20:21]
	v_mul_f64 v[20:21], v[100:101], v[36:37]
	v_fma_f64 v[139:140], v[98:99], v[38:39], -v[20:21]
	s_clause 0x3
	buffer_load_dword v36, off, s[28:31], 0 offset:1136
	buffer_load_dword v37, off, s[28:31], 0 offset:1140
	;; [unrolled: 1-line block ×4, first 2 shown]
	s_waitcnt vmcnt(0) lgkmcnt(21)
	v_mul_f64 v[20:21], v[38:39], v[50:51]
	v_fma_f64 v[141:142], v[36:37], v[48:49], v[20:21]
	v_mul_f64 v[20:21], v[38:39], v[48:49]
	v_fma_f64 v[50:51], v[36:37], v[50:51], -v[20:21]
	s_clause 0x3
	buffer_load_dword v36, off, s[28:31], 0 offset:1184
	buffer_load_dword v37, off, s[28:31], 0 offset:1188
	;; [unrolled: 1-line block ×4, first 2 shown]
	s_waitcnt vmcnt(0) lgkmcnt(19)
	v_mul_f64 v[20:21], v[38:39], v[54:55]
	v_fma_f64 v[58:59], v[36:37], v[52:53], v[20:21]
	v_mul_f64 v[20:21], v[38:39], v[52:53]
	v_add_f64 v[52:53], v[136:137], -v[141:142]
	v_fma_f64 v[143:144], v[36:37], v[54:55], -v[20:21]
	s_clause 0x3
	buffer_load_dword v36, off, s[28:31], 0 offset:1152
	buffer_load_dword v37, off, s[28:31], 0 offset:1156
	;; [unrolled: 1-line block ×4, first 2 shown]
	s_waitcnt vmcnt(0) lgkmcnt(18)
	v_mul_f64 v[20:21], v[38:39], v[62:63]
	v_fma_f64 v[145:146], v[36:37], v[60:61], v[20:21]
	v_mul_f64 v[20:21], v[38:39], v[60:61]
	v_add_f64 v[54:55], v[58:59], v[145:146]
	v_fma_f64 v[60:61], v[36:37], v[62:63], -v[20:21]
	s_clause 0x3
	buffer_load_dword v36, off, s[28:31], 0 offset:1200
	buffer_load_dword v37, off, s[28:31], 0 offset:1204
	;; [unrolled: 1-line block ×4, first 2 shown]
	s_waitcnt vmcnt(0) lgkmcnt(16)
	v_mul_f64 v[20:21], v[38:39], v[70:71]
	v_fma_f64 v[66:67], v[36:37], v[68:69], v[20:21]
	v_mul_f64 v[20:21], v[38:39], v[68:69]
	v_fma_f64 v[68:69], v[36:37], v[70:71], -v[20:21]
	s_clause 0x3
	buffer_load_dword v36, off, s[28:31], 0 offset:1216
	buffer_load_dword v37, off, s[28:31], 0 offset:1220
	;; [unrolled: 1-line block ×4, first 2 shown]
	s_waitcnt vmcnt(0) lgkmcnt(15)
	v_mul_f64 v[20:21], v[38:39], v[74:75]
	v_fma_f64 v[70:71], v[36:37], v[72:73], v[20:21]
	v_mul_f64 v[20:21], v[38:39], v[72:73]
	v_add_f64 v[62:63], v[66:67], v[70:71]
	v_fma_f64 v[72:73], v[36:37], v[74:75], -v[20:21]
	s_clause 0x3
	buffer_load_dword v36, off, s[28:31], 0 offset:1240
	buffer_load_dword v37, off, s[28:31], 0 offset:1244
	buffer_load_dword v38, off, s[28:31], 0 offset:1248
	buffer_load_dword v39, off, s[28:31], 0 offset:1252
	s_waitcnt vmcnt(0) lgkmcnt(13)
	v_mul_f64 v[20:21], v[38:39], v[78:79]
	v_fma_f64 v[74:75], v[36:37], v[76:77], v[20:21]
	v_mul_f64 v[20:21], v[38:39], v[76:77]
	v_fma_f64 v[110:111], v[36:37], v[78:79], -v[20:21]
	s_clause 0x3
	buffer_load_dword v36, off, s[28:31], 0 offset:1260
	buffer_load_dword v37, off, s[28:31], 0 offset:1264
	buffer_load_dword v38, off, s[28:31], 0 offset:1268
	buffer_load_dword v39, off, s[28:31], 0 offset:1272
	s_waitcnt vmcnt(0) lgkmcnt(12)
	v_mul_f64 v[20:21], v[38:39], v[82:83]
	v_fma_f64 v[108:109], v[36:37], v[80:81], v[20:21]
	v_mul_f64 v[20:21], v[38:39], v[80:81]
	;; [unrolled: 10-line block ×9, first 2 shown]
	v_fma_f64 v[80:81], v[36:37], v[128:129], -v[20:21]
	s_clause 0x3
	buffer_load_dword v36, off, s[28:31], 0 offset:1404
	buffer_load_dword v37, off, s[28:31], 0 offset:1408
	;; [unrolled: 1-line block ×4, first 2 shown]
	s_waitcnt vmcnt(0) lgkmcnt(0)
	s_barrier
	buffer_gl0_inv
	v_mul_f64 v[20:21], v[38:39], v[132:133]
	v_fma_f64 v[78:79], v[36:37], v[130:131], v[20:21]
	v_mul_f64 v[20:21], v[38:39], v[130:131]
	v_add_f64 v[38:39], v[136:137], v[141:142]
	v_fma_f64 v[82:83], v[36:37], v[132:133], -v[20:21]
	v_add_f64 v[20:21], v[24:25], v[56:57]
	v_add_f64 v[24:25], v[64:65], -v[30:31]
	v_add_f64 v[36:37], v[56:57], -v[134:135]
	v_fma_f64 v[38:39], v[38:39], -0.5, v[44:45]
	v_add_f64 v[20:21], v[20:21], v[134:135]
	v_fma_f64 v[28:29], v[24:25], s[0:1], v[22:23]
	v_fma_f64 v[24:25], v[24:25], s[4:5], v[22:23]
	v_add_f64 v[22:23], v[26:27], v[64:65]
	v_add_f64 v[22:23], v[22:23], v[30:31]
	v_add_f64 v[30:31], v[64:65], v[30:31]
	v_fma_f64 v[26:27], v[30:31], -0.5, v[26:27]
	v_fma_f64 v[30:31], v[36:37], s[4:5], v[26:27]
	v_fma_f64 v[26:27], v[36:37], s[0:1], v[26:27]
	v_add_f64 v[36:37], v[44:45], v[136:137]
	v_add_f64 v[44:45], v[139:140], -v[50:51]
	v_add_f64 v[36:37], v[36:37], v[141:142]
	v_fma_f64 v[48:49], v[44:45], s[0:1], v[38:39]
	v_fma_f64 v[44:45], v[44:45], s[4:5], v[38:39]
	v_add_f64 v[38:39], v[46:47], v[139:140]
	v_add_f64 v[38:39], v[38:39], v[50:51]
	;; [unrolled: 1-line block ×3, first 2 shown]
	v_fma_f64 v[46:47], v[50:51], -0.5, v[46:47]
	v_fma_f64 v[50:51], v[52:53], s[4:5], v[46:47]
	v_fma_f64 v[46:47], v[52:53], s[0:1], v[46:47]
	v_add_f64 v[52:53], v[40:41], v[58:59]
	v_fma_f64 v[40:41], v[54:55], -0.5, v[40:41]
	v_add_f64 v[54:55], v[143:144], -v[60:61]
	v_add_f64 v[52:53], v[52:53], v[145:146]
	v_fma_f64 v[56:57], v[54:55], s[0:1], v[40:41]
	v_fma_f64 v[40:41], v[54:55], s[4:5], v[40:41]
	v_add_f64 v[54:55], v[42:43], v[143:144]
	v_add_f64 v[54:55], v[54:55], v[60:61]
	;; [unrolled: 1-line block ×3, first 2 shown]
	v_fma_f64 v[42:43], v[60:61], -0.5, v[42:43]
	v_add_f64 v[60:61], v[58:59], -v[145:146]
	v_fma_f64 v[58:59], v[60:61], s[4:5], v[42:43]
	v_fma_f64 v[42:43], v[60:61], s[0:1], v[42:43]
	v_add_f64 v[60:61], v[32:33], v[66:67]
	v_fma_f64 v[32:33], v[62:63], -0.5, v[32:33]
	v_add_f64 v[62:63], v[68:69], -v[72:73]
	v_add_f64 v[60:61], v[60:61], v[70:71]
	v_fma_f64 v[64:65], v[62:63], s[0:1], v[32:33]
	v_fma_f64 v[32:33], v[62:63], s[4:5], v[32:33]
	v_add_f64 v[62:63], v[34:35], v[68:69]
	v_add_f64 v[68:69], v[68:69], v[72:73]
	;; [unrolled: 1-line block ×3, first 2 shown]
	v_fma_f64 v[34:35], v[68:69], -0.5, v[34:35]
	v_add_f64 v[68:69], v[66:67], -v[70:71]
	v_add_f64 v[70:71], v[74:75], v[108:109]
	v_fma_f64 v[66:67], v[68:69], s[4:5], v[34:35]
	v_fma_f64 v[34:35], v[68:69], s[0:1], v[34:35]
	v_add_f64 v[68:69], v[16:17], v[74:75]
	v_fma_f64 v[16:17], v[70:71], -0.5, v[16:17]
	v_add_f64 v[70:71], v[110:111], -v[112:113]
	v_add_f64 v[68:69], v[68:69], v[108:109]
	v_add_f64 v[108:109], v[74:75], -v[108:109]
	v_fma_f64 v[72:73], v[70:71], s[0:1], v[16:17]
	v_fma_f64 v[16:17], v[70:71], s[4:5], v[16:17]
	v_add_f64 v[70:71], v[18:19], v[110:111]
	v_add_f64 v[110:111], v[110:111], v[112:113]
	v_add_f64 v[70:71], v[70:71], v[112:113]
	v_fma_f64 v[18:19], v[110:111], -0.5, v[18:19]
	v_add_f64 v[110:111], v[98:99], v[104:105]
	v_add_f64 v[112:113], v[102:103], -v[106:107]
	v_fma_f64 v[74:75], v[108:109], s[4:5], v[18:19]
	v_fma_f64 v[110:111], v[110:111], -0.5, v[12:13]
	v_fma_f64 v[18:19], v[108:109], s[0:1], v[18:19]
	v_add_f64 v[108:109], v[12:13], v[98:99]
	v_add_f64 v[98:99], v[98:99], -v[104:105]
	v_fma_f64 v[12:13], v[112:113], s[0:1], v[110:111]
	v_fma_f64 v[112:113], v[112:113], s[4:5], v[110:111]
	v_add_f64 v[110:111], v[14:15], v[102:103]
	v_add_f64 v[102:103], v[102:103], v[106:107]
	;; [unrolled: 1-line block ×3, first 2 shown]
	v_add_f64 v[104:105], v[94:95], -v[100:101]
	v_add_f64 v[110:111], v[110:111], v[106:107]
	v_fma_f64 v[102:103], v[102:103], -0.5, v[14:15]
	v_fma_f64 v[14:15], v[98:99], s[4:5], v[102:103]
	v_fma_f64 v[114:115], v[98:99], s[0:1], v[102:103]
	v_add_f64 v[98:99], v[8:9], v[92:93]
	v_add_f64 v[102:103], v[98:99], v[96:97]
	v_add_f64 v[98:99], v[92:93], v[96:97]
	v_add_f64 v[92:93], v[92:93], -v[96:97]
	v_add_f64 v[96:97], v[86:87], -v[90:91]
	v_fma_f64 v[98:99], v[98:99], -0.5, v[8:9]
	v_fma_f64 v[8:9], v[104:105], s[0:1], v[98:99]
	v_fma_f64 v[98:99], v[104:105], s[4:5], v[98:99]
	v_add_f64 v[104:105], v[10:11], v[94:95]
	v_add_f64 v[94:95], v[94:95], v[100:101]
	;; [unrolled: 1-line block ×3, first 2 shown]
	v_fma_f64 v[94:95], v[94:95], -0.5, v[10:11]
	v_fma_f64 v[10:11], v[92:93], s[4:5], v[94:95]
	v_fma_f64 v[100:101], v[92:93], s[0:1], v[94:95]
	v_add_f64 v[94:95], v[84:85], v[88:89]
	v_add_f64 v[92:93], v[4:5], v[84:85]
	v_add_f64 v[84:85], v[84:85], -v[88:89]
	v_fma_f64 v[94:95], v[94:95], -0.5, v[4:5]
	v_add_f64 v[92:93], v[92:93], v[88:89]
	v_add_f64 v[88:89], v[80:81], -v[82:83]
	v_fma_f64 v[4:5], v[96:97], s[0:1], v[94:95]
	v_fma_f64 v[116:117], v[96:97], s[4:5], v[94:95]
	v_add_f64 v[94:95], v[6:7], v[86:87]
	v_add_f64 v[86:87], v[86:87], v[90:91]
	;; [unrolled: 1-line block ×3, first 2 shown]
	v_fma_f64 v[86:87], v[86:87], -0.5, v[6:7]
	v_fma_f64 v[6:7], v[84:85], s[4:5], v[86:87]
	v_fma_f64 v[118:119], v[84:85], s[0:1], v[86:87]
	v_add_f64 v[86:87], v[76:77], v[78:79]
	v_add_f64 v[84:85], v[0:1], v[76:77]
	v_add_f64 v[76:77], v[76:77], -v[78:79]
	v_fma_f64 v[86:87], v[86:87], -0.5, v[0:1]
	v_add_f64 v[84:85], v[84:85], v[78:79]
	v_fma_f64 v[0:1], v[88:89], s[0:1], v[86:87]
	v_fma_f64 v[88:89], v[88:89], s[4:5], v[86:87]
	v_add_f64 v[86:87], v[2:3], v[80:81]
	v_add_f64 v[80:81], v[80:81], v[82:83]
	;; [unrolled: 1-line block ×3, first 2 shown]
	v_fma_f64 v[80:81], v[80:81], -0.5, v[2:3]
	v_fma_f64 v[2:3], v[76:77], s[4:5], v[80:81]
	v_fma_f64 v[90:91], v[76:77], s[0:1], v[80:81]
	buffer_load_dword v76, off, s[28:31], 0 offset:844 ; 4-byte Folded Reload
	s_waitcnt vmcnt(0)
	ds_write_b128 v76, v[20:23]
	ds_write_b128 v76, v[28:31] offset:432
	ds_write_b128 v76, v[24:27] offset:864
	buffer_load_dword v20, off, s[28:31], 0 offset:848 ; 4-byte Folded Reload
	s_waitcnt vmcnt(0)
	ds_write_b128 v20, v[36:39]
	ds_write_b128 v20, v[48:51] offset:432
	ds_write_b128 v20, v[44:47] offset:864
	buffer_load_dword v20, off, s[28:31], 0 offset:868 ; 4-byte Folded Reload
	s_waitcnt vmcnt(0)
	ds_write_b128 v20, v[52:55]
	ds_write_b128 v20, v[56:59] offset:432
	ds_write_b128 v20, v[40:43] offset:864
	buffer_load_dword v20, off, s[28:31], 0 offset:888 ; 4-byte Folded Reload
	s_waitcnt vmcnt(0)
	ds_write_b128 v20, v[60:63]
	ds_write_b128 v20, v[64:67] offset:432
	ds_write_b128 v20, v[32:35] offset:864
	buffer_load_dword v20, off, s[28:31], 0 offset:892 ; 4-byte Folded Reload
	s_waitcnt vmcnt(0)
	ds_write_b128 v20, v[68:71]
	ds_write_b128 v20, v[72:75] offset:432
	ds_write_b128 v20, v[16:19] offset:864
	buffer_load_dword v16, off, s[28:31], 0 offset:896 ; 4-byte Folded Reload
	s_waitcnt vmcnt(0)
	ds_write_b128 v16, v[108:111]
	ds_write_b128 v16, v[12:15] offset:432
	ds_write_b128 v16, v[112:115] offset:864
	buffer_load_dword v12, off, s[28:31], 0 offset:900 ; 4-byte Folded Reload
	s_waitcnt vmcnt(0)
	ds_write_b128 v12, v[102:105]
	ds_write_b128 v12, v[8:11] offset:432
	ds_write_b128 v12, v[98:101] offset:864
	buffer_load_dword v8, off, s[28:31], 0 offset:904 ; 4-byte Folded Reload
	s_waitcnt vmcnt(0)
	ds_write_b128 v8, v[92:95]
	ds_write_b128 v8, v[4:7] offset:432
	ds_write_b128 v8, v[116:119] offset:864
	buffer_load_dword v4, off, s[28:31], 0 offset:924 ; 4-byte Folded Reload
	s_waitcnt vmcnt(0)
	ds_write_b128 v4, v[84:87]
	ds_write_b128 v4, v[0:3] offset:432
	ds_write_b128 v4, v[88:91] offset:864
	s_waitcnt lgkmcnt(0)
	s_barrier
	buffer_gl0_inv
	ds_read_b128 v[28:31], v138
	ds_read_b128 v[24:27], v138 offset:9072
	ds_read_b128 v[32:35], v138 offset:18144
	;; [unrolled: 1-line block ×26, first 2 shown]
	s_clause 0x7
	buffer_load_dword v66, off, s[28:31], 0 offset:780
	buffer_load_dword v67, off, s[28:31], 0 offset:784
	;; [unrolled: 1-line block ×8, first 2 shown]
	s_waitcnt vmcnt(4) lgkmcnt(25)
	v_mul_f64 v[64:65], v[68:69], v[26:27]
	v_fma_f64 v[64:65], v[66:67], v[24:25], v[64:65]
	v_mul_f64 v[24:25], v[68:69], v[24:25]
	v_fma_f64 v[68:69], v[66:67], v[26:27], -v[24:25]
	s_waitcnt vmcnt(0) lgkmcnt(24)
	v_mul_f64 v[24:25], v[72:73], v[34:35]
	v_fma_f64 v[136:137], v[70:71], v[32:33], v[24:25]
	v_mul_f64 v[24:25], v[72:73], v[32:33]
	v_add_f64 v[26:27], v[64:65], v[136:137]
	v_fma_f64 v[34:35], v[70:71], v[34:35], -v[24:25]
	s_clause 0x3
	buffer_load_dword v70, off, s[28:31], 0 offset:812
	buffer_load_dword v71, off, s[28:31], 0 offset:816
	;; [unrolled: 1-line block ×4, first 2 shown]
	v_fma_f64 v[26:27], v[26:27], -0.5, v[28:29]
	s_waitcnt vmcnt(0) lgkmcnt(22)
	v_mul_f64 v[24:25], v[72:73], v[38:39]
	v_fma_f64 v[143:144], v[70:71], v[36:37], v[24:25]
	v_mul_f64 v[24:25], v[72:73], v[36:37]
	v_fma_f64 v[145:146], v[70:71], v[38:39], -v[24:25]
	s_clause 0x3
	buffer_load_dword v36, off, s[28:31], 0 offset:828
	buffer_load_dword v37, off, s[28:31], 0 offset:832
	;; [unrolled: 1-line block ×4, first 2 shown]
	s_waitcnt vmcnt(0) lgkmcnt(21)
	v_mul_f64 v[24:25], v[38:39], v[46:47]
	v_fma_f64 v[147:148], v[36:37], v[44:45], v[24:25]
	v_mul_f64 v[24:25], v[38:39], v[44:45]
	v_fma_f64 v[46:47], v[36:37], v[46:47], -v[24:25]
	s_clause 0x3
	buffer_load_dword v36, off, s[28:31], 0 offset:852
	buffer_load_dword v37, off, s[28:31], 0 offset:856
	;; [unrolled: 1-line block ×4, first 2 shown]
	s_waitcnt vmcnt(0) lgkmcnt(19)
	v_mul_f64 v[24:25], v[38:39], v[54:55]
	v_fma_f64 v[149:150], v[36:37], v[52:53], v[24:25]
	v_mul_f64 v[24:25], v[38:39], v[52:53]
	v_add_f64 v[52:53], v[143:144], -v[147:148]
	v_fma_f64 v[151:152], v[36:37], v[54:55], -v[24:25]
	s_clause 0x3
	buffer_load_dword v36, off, s[28:31], 0 offset:872
	buffer_load_dword v37, off, s[28:31], 0 offset:876
	;; [unrolled: 1-line block ×4, first 2 shown]
	s_waitcnt vmcnt(0) lgkmcnt(18)
	v_mul_f64 v[24:25], v[38:39], v[58:59]
	v_fma_f64 v[153:154], v[36:37], v[56:57], v[24:25]
	v_mul_f64 v[24:25], v[38:39], v[56:57]
	v_add_f64 v[54:55], v[149:150], v[153:154]
	v_fma_f64 v[58:59], v[36:37], v[58:59], -v[24:25]
	s_clause 0x3
	buffer_load_dword v36, off, s[28:31], 0 offset:908
	buffer_load_dword v37, off, s[28:31], 0 offset:912
	;; [unrolled: 1-line block ×4, first 2 shown]
	s_waitcnt vmcnt(0) lgkmcnt(16)
	v_mul_f64 v[24:25], v[38:39], v[62:63]
	v_fma_f64 v[66:67], v[36:37], v[60:61], v[24:25]
	v_mul_f64 v[24:25], v[38:39], v[60:61]
	v_add_f64 v[60:61], v[149:150], -v[153:154]
	v_fma_f64 v[70:71], v[36:37], v[62:63], -v[24:25]
	s_clause 0x3
	buffer_load_dword v36, off, s[28:31], 0 offset:928
	buffer_load_dword v37, off, s[28:31], 0 offset:932
	;; [unrolled: 1-line block ×4, first 2 shown]
	s_waitcnt vmcnt(0) lgkmcnt(15)
	v_mul_f64 v[24:25], v[38:39], v[76:77]
	v_fma_f64 v[72:73], v[36:37], v[74:75], v[24:25]
	v_mul_f64 v[24:25], v[38:39], v[74:75]
	v_add_f64 v[62:63], v[66:67], v[72:73]
	v_fma_f64 v[74:75], v[36:37], v[76:77], -v[24:25]
	s_clause 0x3
	buffer_load_dword v36, off, s[28:31], 0 offset:944
	buffer_load_dword v37, off, s[28:31], 0 offset:948
	buffer_load_dword v38, off, s[28:31], 0 offset:952
	buffer_load_dword v39, off, s[28:31], 0 offset:956
	s_waitcnt vmcnt(0) lgkmcnt(13)
	v_mul_f64 v[24:25], v[38:39], v[82:83]
	v_fma_f64 v[78:79], v[36:37], v[80:81], v[24:25]
	v_mul_f64 v[24:25], v[38:39], v[80:81]
	v_fma_f64 v[116:117], v[36:37], v[82:83], -v[24:25]
	s_clause 0x3
	buffer_load_dword v36, off, s[28:31], 0 offset:960
	buffer_load_dword v37, off, s[28:31], 0 offset:964
	buffer_load_dword v38, off, s[28:31], 0 offset:968
	buffer_load_dword v39, off, s[28:31], 0 offset:972
	s_waitcnt vmcnt(0) lgkmcnt(12)
	v_mul_f64 v[24:25], v[38:39], v[86:87]
	v_fma_f64 v[82:83], v[36:37], v[84:85], v[24:25]
	v_mul_f64 v[24:25], v[38:39], v[84:85]
	;; [unrolled: 10-line block ×9, first 2 shown]
	v_fma_f64 v[88:89], v[36:37], v[134:135], -v[24:25]
	s_clause 0x3
	buffer_load_dword v36, off, s[28:31], 0 offset:1088
	buffer_load_dword v37, off, s[28:31], 0 offset:1092
	;; [unrolled: 1-line block ×4, first 2 shown]
	s_waitcnt vmcnt(0) lgkmcnt(0)
	s_barrier
	buffer_gl0_inv
	v_mul_f64 v[24:25], v[38:39], v[141:142]
	v_fma_f64 v[86:87], v[36:37], v[139:140], v[24:25]
	v_mul_f64 v[24:25], v[38:39], v[139:140]
	v_add_f64 v[38:39], v[143:144], v[147:148]
	v_fma_f64 v[90:91], v[36:37], v[141:142], -v[24:25]
	v_add_f64 v[24:25], v[28:29], v[64:65]
	v_add_f64 v[28:29], v[68:69], -v[34:35]
	v_add_f64 v[36:37], v[64:65], -v[136:137]
	v_fma_f64 v[38:39], v[38:39], -0.5, v[40:41]
	v_add_f64 v[24:25], v[24:25], v[136:137]
	v_fma_f64 v[32:33], v[28:29], s[0:1], v[26:27]
	v_fma_f64 v[28:29], v[28:29], s[4:5], v[26:27]
	v_add_f64 v[26:27], v[30:31], v[68:69]
	v_add_f64 v[26:27], v[26:27], v[34:35]
	;; [unrolled: 1-line block ×3, first 2 shown]
	v_fma_f64 v[30:31], v[34:35], -0.5, v[30:31]
	v_fma_f64 v[34:35], v[36:37], s[4:5], v[30:31]
	v_fma_f64 v[30:31], v[36:37], s[0:1], v[30:31]
	ds_write_b128 v138, v[24:27]
	ds_write_b128 v138, v[32:35] offset:1296
	ds_write_b128 v138, v[28:31] offset:2592
	buffer_load_dword v24, off, s[28:31], 0 offset:460 ; 4-byte Folded Reload
	v_add_f64 v[36:37], v[40:41], v[143:144]
	v_add_f64 v[40:41], v[145:146], -v[46:47]
	v_add_f64 v[36:37], v[36:37], v[147:148]
	v_fma_f64 v[44:45], v[40:41], s[0:1], v[38:39]
	v_fma_f64 v[40:41], v[40:41], s[4:5], v[38:39]
	v_add_f64 v[38:39], v[42:43], v[145:146]
	v_add_f64 v[38:39], v[38:39], v[46:47]
	;; [unrolled: 1-line block ×3, first 2 shown]
	v_fma_f64 v[42:43], v[46:47], -0.5, v[42:43]
	v_fma_f64 v[46:47], v[52:53], s[4:5], v[42:43]
	v_fma_f64 v[42:43], v[52:53], s[0:1], v[42:43]
	s_waitcnt vmcnt(0)
	ds_write_b128 v24, v[36:39]
	ds_write_b128 v24, v[44:47] offset:1296
	ds_write_b128 v24, v[40:43] offset:2592
	buffer_load_dword v24, off, s[28:31], 0 offset:464 ; 4-byte Folded Reload
	v_add_f64 v[52:53], v[48:49], v[149:150]
	v_fma_f64 v[48:49], v[54:55], -0.5, v[48:49]
	v_add_f64 v[54:55], v[151:152], -v[58:59]
	v_add_f64 v[52:53], v[52:53], v[153:154]
	v_fma_f64 v[56:57], v[54:55], s[0:1], v[48:49]
	v_fma_f64 v[48:49], v[54:55], s[4:5], v[48:49]
	v_add_f64 v[54:55], v[50:51], v[151:152]
	v_add_f64 v[54:55], v[54:55], v[58:59]
	;; [unrolled: 1-line block ×3, first 2 shown]
	v_fma_f64 v[50:51], v[58:59], -0.5, v[50:51]
	v_fma_f64 v[58:59], v[60:61], s[4:5], v[50:51]
	v_fma_f64 v[50:51], v[60:61], s[0:1], v[50:51]
	s_waitcnt vmcnt(0)
	ds_write_b128 v24, v[52:55]
	ds_write_b128 v24, v[56:59] offset:1296
	ds_write_b128 v24, v[48:51] offset:2592
	buffer_load_dword v24, off, s[28:31], 0 offset:468 ; 4-byte Folded Reload
	v_add_f64 v[60:61], v[20:21], v[66:67]
	v_fma_f64 v[20:21], v[62:63], -0.5, v[20:21]
	v_add_f64 v[62:63], v[70:71], -v[74:75]
	v_add_f64 v[60:61], v[60:61], v[72:73]
	v_fma_f64 v[68:69], v[62:63], s[0:1], v[20:21]
	v_fma_f64 v[64:65], v[62:63], s[4:5], v[20:21]
	v_add_f64 v[20:21], v[22:23], v[70:71]
	v_add_f64 v[62:63], v[20:21], v[74:75]
	;; [unrolled: 1-line block ×3, first 2 shown]
	v_fma_f64 v[20:21], v[20:21], -0.5, v[22:23]
	v_add_f64 v[22:23], v[66:67], -v[72:73]
	v_fma_f64 v[70:71], v[22:23], s[4:5], v[20:21]
	v_fma_f64 v[66:67], v[22:23], s[0:1], v[20:21]
	s_waitcnt vmcnt(0)
	ds_write_b128 v24, v[60:63]
	ds_write_b128 v24, v[68:71] offset:1296
	ds_write_b128 v24, v[64:67] offset:2592
	buffer_load_dword v24, off, s[28:31], 0 offset:472 ; 4-byte Folded Reload
	v_add_f64 v[20:21], v[12:13], v[78:79]
	v_add_f64 v[22:23], v[88:89], v[90:91]
	;; [unrolled: 1-line block ×4, first 2 shown]
	v_fma_f64 v[22:23], v[22:23], -0.5, v[18:19]
	v_fma_f64 v[12:13], v[20:21], -0.5, v[12:13]
	v_add_f64 v[20:21], v[116:117], -v[118:119]
	v_fma_f64 v[80:81], v[20:21], s[0:1], v[12:13]
	v_fma_f64 v[76:77], v[20:21], s[4:5], v[12:13]
	v_add_f64 v[12:13], v[14:15], v[116:117]
	v_add_f64 v[20:21], v[88:89], -v[90:91]
	v_add_f64 v[74:75], v[12:13], v[118:119]
	v_add_f64 v[12:13], v[116:117], v[118:119]
	v_fma_f64 v[12:13], v[12:13], -0.5, v[14:15]
	v_add_f64 v[14:15], v[78:79], -v[82:83]
	v_fma_f64 v[82:83], v[14:15], s[4:5], v[12:13]
	v_fma_f64 v[78:79], v[14:15], s[0:1], v[12:13]
	s_waitcnt vmcnt(0)
	ds_write_b128 v24, v[72:75] offset:11664
	ds_write_b128 v24, v[80:83] offset:12960
	ds_write_b128 v24, v[76:79] offset:14256
	buffer_load_dword v24, off, s[28:31], 0 offset:476 ; 4-byte Folded Reload
	v_add_f64 v[12:13], v[8:9], v[108:109]
	v_add_f64 v[14:15], v[84:85], v[86:87]
	;; [unrolled: 1-line block ×4, first 2 shown]
	v_fma_f64 v[14:15], v[14:15], -0.5, v[16:17]
	v_fma_f64 v[8:9], v[12:13], -0.5, v[8:9]
	v_add_f64 v[12:13], v[110:111], -v[114:115]
	v_fma_f64 v[120:121], v[12:13], s[0:1], v[8:9]
	v_fma_f64 v[124:125], v[12:13], s[4:5], v[8:9]
	v_add_f64 v[8:9], v[10:11], v[110:111]
	v_add_f64 v[12:13], v[92:93], -v[96:97]
	v_add_f64 v[118:119], v[8:9], v[114:115]
	v_add_f64 v[8:9], v[110:111], v[114:115]
	v_fma_f64 v[8:9], v[8:9], -0.5, v[10:11]
	v_add_f64 v[10:11], v[108:109], -v[112:113]
	v_fma_f64 v[122:123], v[10:11], s[4:5], v[8:9]
	v_fma_f64 v[126:127], v[10:11], s[0:1], v[8:9]
	s_waitcnt vmcnt(0)
	ds_write_b128 v24, v[116:119]
	ds_write_b128 v24, v[120:123] offset:1296
	ds_write_b128 v24, v[124:127] offset:2592
	buffer_load_dword v24, off, s[28:31], 0 offset:480 ; 4-byte Folded Reload
	v_add_f64 v[8:9], v[0:1], v[100:101]
	v_add_f64 v[10:11], v[94:95], v[98:99]
	;; [unrolled: 1-line block ×4, first 2 shown]
	v_fma_f64 v[10:11], v[10:11], -0.5, v[6:7]
	v_fma_f64 v[0:1], v[8:9], -0.5, v[0:1]
	v_add_f64 v[8:9], v[102:103], -v[106:107]
	v_fma_f64 v[112:113], v[8:9], s[0:1], v[0:1]
	v_fma_f64 v[128:129], v[8:9], s[4:5], v[0:1]
	v_add_f64 v[0:1], v[2:3], v[102:103]
	v_add_f64 v[8:9], v[94:95], -v[98:99]
	v_add_f64 v[110:111], v[0:1], v[106:107]
	v_add_f64 v[0:1], v[102:103], v[106:107]
	v_fma_f64 v[0:1], v[0:1], -0.5, v[2:3]
	v_add_f64 v[2:3], v[100:101], -v[104:105]
	v_fma_f64 v[114:115], v[2:3], s[4:5], v[0:1]
	v_fma_f64 v[130:131], v[2:3], s[0:1], v[0:1]
	s_waitcnt vmcnt(0)
	ds_write_b128 v24, v[108:111]
	ds_write_b128 v24, v[112:115] offset:1296
	ds_write_b128 v24, v[128:131] offset:2592
	buffer_load_dword v24, off, s[28:31], 0 offset:568 ; 4-byte Folded Reload
	v_add_f64 v[2:3], v[92:93], v[96:97]
	v_add_f64 v[0:1], v[4:5], v[92:93]
	v_fma_f64 v[2:3], v[2:3], -0.5, v[4:5]
	v_add_f64 v[0:1], v[0:1], v[96:97]
	v_fma_f64 v[4:5], v[8:9], s[0:1], v[2:3]
	v_fma_f64 v[8:9], v[8:9], s[4:5], v[2:3]
	v_add_f64 v[2:3], v[6:7], v[94:95]
	v_fma_f64 v[6:7], v[12:13], s[4:5], v[10:11]
	v_fma_f64 v[10:11], v[12:13], s[0:1], v[10:11]
	;; [unrolled: 3-line block ×3, first 2 shown]
	v_add_f64 v[14:15], v[18:19], v[88:89]
	v_add_f64 v[84:85], v[84:85], -v[86:87]
	v_add_f64 v[2:3], v[2:3], v[98:99]
	s_waitcnt vmcnt(0)
	ds_write_b128 v24, v[0:3]
	ds_write_b128 v24, v[4:7] offset:1296
	ds_write_b128 v24, v[8:11] offset:2592
	buffer_load_dword v24, off, s[28:31], 0 offset:564 ; 4-byte Folded Reload
	v_add_f64 v[12:13], v[12:13], v[86:87]
	v_add_f64 v[14:15], v[14:15], v[90:91]
	v_fma_f64 v[18:19], v[84:85], s[4:5], v[22:23]
	v_fma_f64 v[22:23], v[84:85], s[0:1], v[22:23]
	s_waitcnt vmcnt(0)
	ds_write_b128 v24, v[12:15] offset:23328
	ds_write_b128 v24, v[16:19] offset:24624
	;; [unrolled: 1-line block ×3, first 2 shown]
	s_waitcnt lgkmcnt(0)
	s_barrier
	buffer_gl0_inv
	ds_read_b128 v[28:31], v138
	ds_read_b128 v[104:107], v138 offset:3888
	ds_read_b128 v[100:103], v138 offset:7776
	;; [unrolled: 1-line block ×20, first 2 shown]
	s_and_saveexec_b32 s0, vcc_lo
	s_cbranch_execz .LBB0_7
; %bb.6:
	ds_read_b128 v[0:3], v138 offset:3024
	ds_read_b128 v[4:7], v138 offset:6912
	;; [unrolled: 1-line block ×7, first 2 shown]
	s_waitcnt lgkmcnt(0)
	buffer_store_dword v108, off, s[28:31], 0 offset:4 ; 4-byte Folded Spill
	buffer_store_dword v109, off, s[28:31], 0 offset:8 ; 4-byte Folded Spill
	;; [unrolled: 1-line block ×4, first 2 shown]
.LBB0_7:
	s_or_b32 exec_lo, exec_lo, s0
	s_clause 0x3
	buffer_load_dword v112, off, s[28:31], 0 offset:532
	buffer_load_dword v113, off, s[28:31], 0 offset:536
	;; [unrolled: 1-line block ×4, first 2 shown]
	s_mov_b32 s0, 0x37e14327
	s_mov_b32 s4, 0x36b3c0b5
	;; [unrolled: 1-line block ×20, first 2 shown]
	s_waitcnt vmcnt(0) lgkmcnt(19)
	v_mul_f64 v[108:109], v[114:115], v[106:107]
	v_fma_f64 v[110:111], v[112:113], v[104:105], v[108:109]
	v_mul_f64 v[104:105], v[114:115], v[104:105]
	v_fma_f64 v[112:113], v[112:113], v[106:107], -v[104:105]
	s_clause 0x3
	buffer_load_dword v106, off, s[28:31], 0 offset:516
	buffer_load_dword v107, off, s[28:31], 0 offset:520
	buffer_load_dword v108, off, s[28:31], 0 offset:524
	buffer_load_dword v109, off, s[28:31], 0 offset:528
	s_waitcnt vmcnt(0) lgkmcnt(18)
	v_mul_f64 v[104:105], v[108:109], v[102:103]
	v_fma_f64 v[114:115], v[106:107], v[100:101], v[104:105]
	v_mul_f64 v[100:101], v[108:109], v[100:101]
	v_fma_f64 v[116:117], v[106:107], v[102:103], -v[100:101]
	s_clause 0x3
	buffer_load_dword v102, off, s[28:31], 0 offset:500
	buffer_load_dword v103, off, s[28:31], 0 offset:504
	buffer_load_dword v104, off, s[28:31], 0 offset:508
	buffer_load_dword v105, off, s[28:31], 0 offset:512
	;; [unrolled: 10-line block ×13, first 2 shown]
	v_add_f64 v[58:59], v[124:125], -v[120:121]
	s_waitcnt vmcnt(0) lgkmcnt(4)
	v_mul_f64 v[56:57], v[86:87], v[54:55]
	v_fma_f64 v[92:93], v[84:85], v[52:53], v[56:57]
	v_mul_f64 v[52:53], v[86:87], v[52:53]
	v_fma_f64 v[94:95], v[84:85], v[54:55], -v[52:53]
	s_clause 0x3
	buffer_load_dword v54, off, s[28:31], 0 offset:636
	buffer_load_dword v55, off, s[28:31], 0 offset:640
	;; [unrolled: 1-line block ×4, first 2 shown]
	s_waitcnt vmcnt(0) lgkmcnt(3)
	v_mul_f64 v[52:53], v[56:57], v[50:51]
	v_fma_f64 v[84:85], v[54:55], v[48:49], v[52:53]
	v_mul_f64 v[48:49], v[56:57], v[48:49]
	v_add_f64 v[56:57], v[122:123], -v[118:119]
	v_fma_f64 v[86:87], v[54:55], v[50:51], -v[48:49]
	s_clause 0x3
	buffer_load_dword v50, off, s[28:31], 0 offset:604
	buffer_load_dword v51, off, s[28:31], 0 offset:608
	;; [unrolled: 1-line block ×4, first 2 shown]
	v_add_f64 v[54:55], v[120:121], v[124:125]
	s_waitcnt vmcnt(0) lgkmcnt(2)
	v_mul_f64 v[48:49], v[52:53], v[46:47]
	v_fma_f64 v[88:89], v[50:51], v[44:45], v[48:49]
	v_mul_f64 v[44:45], v[52:53], v[44:45]
	v_add_f64 v[52:53], v[118:119], v[122:123]
	v_fma_f64 v[90:91], v[50:51], v[46:47], -v[44:45]
	s_clause 0x3
	buffer_load_dword v46, off, s[28:31], 0 offset:732
	buffer_load_dword v47, off, s[28:31], 0 offset:736
	;; [unrolled: 1-line block ×4, first 2 shown]
	v_add_f64 v[50:51], v[116:117], -v[128:129]
	v_add_f64 v[118:119], v[58:59], v[50:51]
	v_add_f64 v[122:123], v[58:59], -v[50:51]
	s_waitcnt vmcnt(0) lgkmcnt(1)
	v_mul_f64 v[44:45], v[48:49], v[42:43]
	v_fma_f64 v[100:101], v[46:47], v[40:41], v[44:45]
	v_mul_f64 v[40:41], v[48:49], v[40:41]
	v_add_f64 v[48:49], v[114:115], -v[126:127]
	v_fma_f64 v[102:103], v[46:47], v[42:43], -v[40:41]
	s_clause 0x3
	buffer_load_dword v42, off, s[28:31], 0 offset:716
	buffer_load_dword v43, off, s[28:31], 0 offset:720
	;; [unrolled: 1-line block ×4, first 2 shown]
	v_add_f64 v[46:47], v[116:117], v[128:129]
	v_add_f64 v[116:117], v[56:57], v[48:49]
	v_add_f64 v[120:121], v[56:57], -v[48:49]
	s_waitcnt vmcnt(0) lgkmcnt(0)
	v_mul_f64 v[40:41], v[44:45], v[38:39]
	v_fma_f64 v[104:105], v[42:43], v[36:37], v[40:41]
	v_mul_f64 v[36:37], v[44:45], v[36:37]
	v_add_f64 v[44:45], v[114:115], v[126:127]
	v_add_f64 v[40:41], v[110:111], -v[130:131]
	v_fma_f64 v[106:107], v[42:43], v[38:39], -v[36:37]
	v_add_f64 v[36:37], v[110:111], v[130:131]
	v_add_f64 v[38:39], v[112:113], v[132:133]
	v_add_f64 v[42:43], v[112:113], -v[132:133]
	v_add_f64 v[48:49], v[48:49], -v[40:41]
	;; [unrolled: 1-line block ×3, first 2 shown]
	v_add_f64 v[40:41], v[116:117], v[40:41]
	v_mul_f64 v[116:117], v[120:121], s[14:15]
	v_add_f64 v[62:63], v[44:45], v[36:37]
	v_add_f64 v[110:111], v[46:47], v[38:39]
	v_add_f64 v[112:113], v[44:45], -v[36:37]
	v_add_f64 v[114:115], v[46:47], -v[38:39]
	;; [unrolled: 1-line block ×8, first 2 shown]
	v_add_f64 v[42:43], v[118:119], v[42:43]
	v_mul_f64 v[118:119], v[122:123], s[14:15]
	v_mul_f64 v[120:121], v[48:49], s[6:7]
	v_fma_f64 v[48:49], v[48:49], s[6:7], -v[116:117]
	v_add_f64 v[52:53], v[52:53], v[62:63]
	v_add_f64 v[54:55], v[54:55], v[110:111]
	v_mul_f64 v[36:37], v[36:37], s[0:1]
	v_mul_f64 v[38:39], v[38:39], s[0:1]
	;; [unrolled: 1-line block ×5, first 2 shown]
	v_fma_f64 v[50:51], v[50:51], s[6:7], -v[118:119]
	v_add_f64 v[28:29], v[28:29], v[52:53]
	v_add_f64 v[30:31], v[30:31], v[54:55]
	v_fma_f64 v[44:45], v[44:45], s[4:5], v[36:37]
	v_fma_f64 v[46:47], v[46:47], s[4:5], v[38:39]
	v_fma_f64 v[62:63], v[112:113], s[16:17], -v[62:63]
	v_fma_f64 v[110:111], v[114:115], s[16:17], -v[110:111]
	;; [unrolled: 1-line block ×4, first 2 shown]
	v_fma_f64 v[112:113], v[56:57], s[20:21], v[116:117]
	v_fma_f64 v[114:115], v[58:59], s[20:21], v[118:119]
	v_fma_f64 v[56:57], v[56:57], s[22:23], -v[120:121]
	v_fma_f64 v[58:59], v[58:59], s[22:23], -v[122:123]
	v_fma_f64 v[52:53], v[52:53], s[12:13], v[28:29]
	v_fma_f64 v[54:55], v[54:55], s[12:13], v[30:31]
	;; [unrolled: 1-line block ×3, first 2 shown]
	v_add_f64 v[116:117], v[44:45], v[52:53]
	v_add_f64 v[118:119], v[46:47], v[54:55]
	;; [unrolled: 1-line block ×6, first 2 shown]
	v_fma_f64 v[62:63], v[40:41], s[24:25], v[112:113]
	v_fma_f64 v[110:111], v[42:43], s[24:25], v[114:115]
	;; [unrolled: 1-line block ×5, first 2 shown]
	v_add_f64 v[54:55], v[38:39], -v[120:121]
	v_add_f64 v[58:59], v[118:119], -v[62:63]
	v_add_f64 v[56:57], v[110:111], v[116:117]
	v_add_f64 v[42:43], v[120:121], v[38:39]
	;; [unrolled: 1-line block ×3, first 2 shown]
	v_add_f64 v[40:41], v[36:37], -v[40:41]
	v_add_f64 v[36:37], v[116:117], -v[110:111]
	v_add_f64 v[38:39], v[62:63], v[118:119]
	v_add_f64 v[62:63], v[82:83], v[66:67]
	;; [unrolled: 1-line block ×3, first 2 shown]
	v_add_f64 v[66:67], v[82:83], -v[66:67]
	v_add_f64 v[60:61], v[108:109], -v[60:61]
	v_add_f64 v[82:83], v[80:81], v[70:71]
	v_add_f64 v[108:109], v[78:79], v[64:65]
	v_add_f64 v[70:71], v[80:81], -v[70:71]
	v_add_f64 v[64:65], v[78:79], -v[64:65]
	v_add_f64 v[78:79], v[76:77], v[74:75]
	v_add_f64 v[80:81], v[72:73], v[68:69]
	v_add_f64 v[74:75], v[74:75], -v[76:77]
	v_add_f64 v[68:69], v[68:69], -v[72:73]
	;; [unrolled: 1-line block ×3, first 2 shown]
	v_add_f64 v[50:51], v[112:113], v[46:47]
	v_add_f64 v[44:45], v[114:115], v[44:45]
	v_add_f64 v[46:47], v[46:47], -v[112:113]
	v_add_f64 v[72:73], v[82:83], v[62:63]
	v_add_f64 v[76:77], v[108:109], v[110:111]
	v_add_f64 v[112:113], v[82:83], -v[62:63]
	v_add_f64 v[114:115], v[108:109], -v[110:111]
	;; [unrolled: 1-line block ×6, first 2 shown]
	v_add_f64 v[116:117], v[74:75], v[70:71]
	v_add_f64 v[118:119], v[68:69], v[64:65]
	v_add_f64 v[120:121], v[74:75], -v[70:71]
	v_add_f64 v[122:123], v[68:69], -v[64:65]
	;; [unrolled: 1-line block ×6, first 2 shown]
	v_add_f64 v[72:73], v[78:79], v[72:73]
	v_add_f64 v[76:77], v[80:81], v[76:77]
	v_mul_f64 v[62:63], v[62:63], s[0:1]
	v_mul_f64 v[78:79], v[110:111], s[0:1]
	;; [unrolled: 1-line block ×4, first 2 shown]
	v_add_f64 v[66:67], v[116:117], v[66:67]
	v_add_f64 v[60:61], v[118:119], v[60:61]
	v_mul_f64 v[116:117], v[120:121], s[14:15]
	v_mul_f64 v[118:119], v[122:123], s[14:15]
	;; [unrolled: 1-line block ×4, first 2 shown]
	v_add_f64 v[32:33], v[32:33], v[72:73]
	v_add_f64 v[34:35], v[34:35], v[76:77]
	v_fma_f64 v[82:83], v[82:83], s[4:5], v[62:63]
	v_fma_f64 v[108:109], v[108:109], s[4:5], v[78:79]
	v_fma_f64 v[80:81], v[112:113], s[16:17], -v[80:81]
	v_fma_f64 v[110:111], v[114:115], s[16:17], -v[110:111]
	;; [unrolled: 1-line block ×4, first 2 shown]
	v_fma_f64 v[112:113], v[74:75], s[20:21], v[116:117]
	v_fma_f64 v[114:115], v[68:69], s[20:21], v[118:119]
	v_fma_f64 v[70:71], v[70:71], s[6:7], -v[116:117]
	v_fma_f64 v[64:65], v[64:65], s[6:7], -v[118:119]
	v_fma_f64 v[68:69], v[68:69], s[22:23], -v[122:123]
	v_fma_f64 v[74:75], v[74:75], s[22:23], -v[120:121]
	v_fma_f64 v[72:73], v[72:73], s[12:13], v[32:33]
	v_fma_f64 v[76:77], v[76:77], s[12:13], v[34:35]
	;; [unrolled: 1-line block ×8, first 2 shown]
	v_add_f64 v[118:119], v[80:81], v[72:73]
	v_add_f64 v[108:109], v[108:109], v[76:77]
	;; [unrolled: 1-line block ×6, first 2 shown]
	v_add_f64 v[72:73], v[118:119], -v[64:65]
	v_add_f64 v[82:83], v[108:109], -v[112:113]
	v_add_f64 v[74:75], v[70:71], v[110:111]
	v_add_f64 v[76:77], v[60:61], v[62:63]
	;; [unrolled: 1-line block ×3, first 2 shown]
	v_add_f64 v[70:71], v[110:111], -v[70:71]
	v_add_f64 v[64:65], v[62:63], -v[60:61]
	v_add_f64 v[62:63], v[112:113], v[108:109]
	v_add_f64 v[108:109], v[96:97], v[104:105]
	;; [unrolled: 1-line block ×3, first 2 shown]
	v_add_f64 v[96:97], v[96:97], -v[104:105]
	v_add_f64 v[98:99], v[98:99], -v[106:107]
	v_add_f64 v[104:105], v[92:93], v[100:101]
	v_add_f64 v[106:107], v[94:95], v[102:103]
	v_add_f64 v[92:93], v[92:93], -v[100:101]
	v_add_f64 v[94:95], v[94:95], -v[102:103]
	v_add_f64 v[100:101], v[84:85], v[88:89]
	v_add_f64 v[102:103], v[86:87], v[90:91]
	v_add_f64 v[84:85], v[88:89], -v[84:85]
	v_add_f64 v[86:87], v[90:91], -v[86:87]
	v_add_f64 v[80:81], v[114:115], v[116:117]
	v_add_f64 v[78:79], v[120:121], -v[66:67]
	v_add_f64 v[66:67], v[66:67], v[120:121]
	;; [unrolled: 2-line block ×3, first 2 shown]
	v_add_f64 v[90:91], v[106:107], v[110:111]
	v_add_f64 v[112:113], v[104:105], -v[108:109]
	v_add_f64 v[114:115], v[106:107], -v[110:111]
	;; [unrolled: 1-line block ×6, first 2 shown]
	v_add_f64 v[116:117], v[84:85], v[92:93]
	v_add_f64 v[118:119], v[86:87], v[94:95]
	v_add_f64 v[120:121], v[84:85], -v[92:93]
	v_add_f64 v[122:123], v[86:87], -v[94:95]
	;; [unrolled: 1-line block ×6, first 2 shown]
	v_add_f64 v[88:89], v[100:101], v[88:89]
	v_add_f64 v[90:91], v[102:103], v[90:91]
	v_mul_f64 v[100:101], v[108:109], s[0:1]
	v_mul_f64 v[102:103], v[110:111], s[0:1]
	v_mul_f64 v[108:109], v[104:105], s[4:5]
	v_mul_f64 v[110:111], v[106:107], s[4:5]
	v_add_f64 v[96:97], v[116:117], v[96:97]
	v_add_f64 v[98:99], v[118:119], v[98:99]
	v_mul_f64 v[116:117], v[120:121], s[14:15]
	v_mul_f64 v[118:119], v[122:123], s[14:15]
	;; [unrolled: 1-line block ×4, first 2 shown]
	v_add_f64 v[24:25], v[24:25], v[88:89]
	v_add_f64 v[26:27], v[26:27], v[90:91]
	v_fma_f64 v[104:105], v[104:105], s[4:5], v[100:101]
	v_fma_f64 v[106:107], v[106:107], s[4:5], v[102:103]
	v_fma_f64 v[108:109], v[112:113], s[16:17], -v[108:109]
	v_fma_f64 v[110:111], v[114:115], s[16:17], -v[110:111]
	;; [unrolled: 1-line block ×4, first 2 shown]
	v_fma_f64 v[112:113], v[84:85], s[20:21], v[116:117]
	v_fma_f64 v[114:115], v[86:87], s[20:21], v[118:119]
	v_fma_f64 v[84:85], v[84:85], s[22:23], -v[120:121]
	v_fma_f64 v[86:87], v[86:87], s[22:23], -v[122:123]
	;; [unrolled: 1-line block ×4, first 2 shown]
	v_fma_f64 v[88:89], v[88:89], s[12:13], v[24:25]
	v_fma_f64 v[90:91], v[90:91], s[12:13], v[26:27]
	;; [unrolled: 1-line block ×8, first 2 shown]
	v_add_f64 v[104:105], v[104:105], v[88:89]
	v_add_f64 v[106:107], v[106:107], v[90:91]
	;; [unrolled: 1-line block ×7, first 2 shown]
	v_add_f64 v[86:87], v[106:107], -v[112:113]
	v_add_f64 v[88:89], v[122:123], v[100:101]
	v_add_f64 v[90:91], v[102:103], -v[120:121]
	v_add_f64 v[92:93], v[108:109], -v[118:119]
	v_add_f64 v[94:95], v[116:117], v[110:111]
	v_add_f64 v[96:97], v[118:119], v[108:109]
	v_add_f64 v[98:99], v[110:111], -v[116:117]
	v_add_f64 v[100:101], v[100:101], -v[122:123]
	v_add_f64 v[102:103], v[120:121], v[102:103]
	v_add_f64 v[104:105], v[104:105], -v[114:115]
	v_add_f64 v[106:107], v[112:113], v[106:107]
	ds_write_b128 v138, v[28:31]
	ds_write_b128 v138, v[56:59] offset:3888
	ds_write_b128 v138, v[52:55] offset:7776
	;; [unrolled: 1-line block ×20, first 2 shown]
	s_and_saveexec_b32 s26, vcc_lo
	s_cbranch_execz .LBB0_9
; %bb.8:
	s_clause 0x1b
	buffer_load_dword v68, off, s[28:31], 0 offset:1768
	buffer_load_dword v69, off, s[28:31], 0 offset:1772
	;; [unrolled: 1-line block ×28, first 2 shown]
	s_waitcnt vmcnt(22)
	v_mul_f64 v[24:25], v[70:71], v[72:73]
	s_waitcnt vmcnt(16)
	v_mul_f64 v[26:27], v[58:59], v[4:5]
	;; [unrolled: 2-line block ×4, first 2 shown]
	v_mul_f64 v[32:33], v[58:59], v[6:7]
	v_mul_f64 v[34:35], v[70:71], v[74:75]
	;; [unrolled: 1-line block ×4, first 2 shown]
	s_waitcnt vmcnt(4)
	v_mul_f64 v[40:41], v[50:51], v[18:19]
	s_waitcnt vmcnt(0)
	v_mul_f64 v[42:43], v[54:55], v[14:15]
	v_mul_f64 v[44:45], v[54:55], v[12:13]
	;; [unrolled: 1-line block ×3, first 2 shown]
	v_fma_f64 v[24:25], v[68:69], v[74:75], -v[24:25]
	v_fma_f64 v[6:7], v[56:57], v[6:7], -v[26:27]
	;; [unrolled: 1-line block ×4, first 2 shown]
	v_fma_f64 v[4:5], v[56:57], v[4:5], v[32:33]
	v_fma_f64 v[26:27], v[68:69], v[72:73], v[34:35]
	;; [unrolled: 1-line block ×6, first 2 shown]
	v_fma_f64 v[14:15], v[52:53], v[14:15], -v[44:45]
	v_fma_f64 v[18:19], v[48:49], v[18:19], -v[46:47]
	v_add_f64 v[28:29], v[6:7], v[24:25]
	v_add_f64 v[6:7], v[6:7], -v[24:25]
	v_add_f64 v[30:31], v[10:11], v[22:23]
	v_add_f64 v[10:11], v[10:11], -v[22:23]
	;; [unrolled: 2-line block ×4, first 2 shown]
	v_add_f64 v[36:37], v[16:17], -v[12:13]
	v_add_f64 v[12:13], v[12:13], v[16:17]
	v_add_f64 v[20:21], v[14:15], v[18:19]
	v_add_f64 v[14:15], v[18:19], -v[14:15]
	v_add_f64 v[16:17], v[30:31], v[28:29]
	v_add_f64 v[42:43], v[10:11], -v[6:7]
	;; [unrolled: 2-line block ×3, first 2 shown]
	v_add_f64 v[22:23], v[36:37], -v[8:9]
	v_add_f64 v[26:27], v[32:33], -v[12:13]
	;; [unrolled: 1-line block ×5, first 2 shown]
	v_add_f64 v[8:9], v[36:37], v[8:9]
	v_add_f64 v[10:11], v[14:15], v[10:11]
	v_add_f64 v[14:15], v[6:7], -v[14:15]
	v_add_f64 v[28:29], v[30:31], -v[28:29]
	;; [unrolled: 1-line block ×3, first 2 shown]
	v_add_f64 v[16:17], v[20:21], v[16:17]
	v_add_f64 v[20:21], v[20:21], -v[30:31]
	v_mul_f64 v[46:47], v[42:43], s[6:7]
	v_add_f64 v[18:19], v[12:13], v[18:19]
	v_add_f64 v[12:13], v[12:13], -v[34:35]
	v_mul_f64 v[22:23], v[22:23], s[14:15]
	v_mul_f64 v[26:27], v[26:27], s[0:1]
	;; [unrolled: 1-line block ×5, first 2 shown]
	v_add_f64 v[4:5], v[8:9], v[4:5]
	v_add_f64 v[6:7], v[10:11], v[6:7]
	;; [unrolled: 1-line block ×3, first 2 shown]
	v_mul_f64 v[30:31], v[20:21], s[4:5]
	v_add_f64 v[0:1], v[0:1], v[18:19]
	v_mul_f64 v[34:35], v[12:13], s[4:5]
	v_fma_f64 v[8:9], v[44:45], s[20:21], v[22:23]
	v_fma_f64 v[12:13], v[12:13], s[4:5], v[26:27]
	;; [unrolled: 1-line block ×3, first 2 shown]
	v_fma_f64 v[20:21], v[44:45], s[22:23], -v[36:37]
	v_fma_f64 v[22:23], v[38:39], s[6:7], -v[22:23]
	;; [unrolled: 1-line block ×5, first 2 shown]
	v_fma_f64 v[16:17], v[16:17], s[12:13], v[2:3]
	v_fma_f64 v[28:29], v[28:29], s[16:17], -v[30:31]
	v_fma_f64 v[30:31], v[14:15], s[20:21], v[40:41]
	v_fma_f64 v[14:15], v[14:15], s[22:23], -v[46:47]
	;; [unrolled: 2-line block ×3, first 2 shown]
	v_fma_f64 v[8:9], v[4:5], s[24:25], v[8:9]
	v_fma_f64 v[20:21], v[4:5], s[24:25], v[20:21]
	;; [unrolled: 1-line block ×4, first 2 shown]
	v_add_f64 v[34:35], v[10:11], v[16:17]
	v_add_f64 v[22:23], v[24:25], v[16:17]
	;; [unrolled: 1-line block ×3, first 2 shown]
	v_fma_f64 v[28:29], v[6:7], s[24:25], v[30:31]
	v_add_f64 v[38:39], v[12:13], v[18:19]
	v_fma_f64 v[30:31], v[6:7], s[24:25], v[14:15]
	v_add_f64 v[40:41], v[26:27], v[18:19]
	v_add_f64 v[12:13], v[32:33], v[18:19]
	v_add_f64 v[26:27], v[34:35], -v[8:9]
	v_add_f64 v[10:11], v[20:21], v[22:23]
	v_add_f64 v[22:23], v[22:23], -v[20:21]
	v_add_f64 v[14:15], v[16:17], -v[4:5]
	v_add_f64 v[24:25], v[28:29], v[38:39]
	v_add_f64 v[18:19], v[4:5], v[16:17]
	;; [unrolled: 1-line block ×3, first 2 shown]
	v_add_f64 v[16:17], v[12:13], -v[36:37]
	v_add_f64 v[12:13], v[36:37], v[12:13]
	v_add_f64 v[6:7], v[8:9], v[34:35]
	v_add_f64 v[8:9], v[40:41], -v[30:31]
	v_add_f64 v[4:5], v[38:39], -v[28:29]
	ds_write_b128 v138, v[0:3] offset:3024
	ds_write_b128 v138, v[24:27] offset:6912
	;; [unrolled: 1-line block ×7, first 2 shown]
.LBB0_9:
	s_or_b32 exec_lo, exec_lo, s26
	s_waitcnt lgkmcnt(0)
	s_waitcnt_vscnt null, 0x0
	s_barrier
	buffer_gl0_inv
	ds_read_b128 v[0:3], v138
	ds_read_b128 v[4:7], v138 offset:9072
	ds_read_b128 v[8:11], v138 offset:18144
	s_clause 0x1
	buffer_load_dword v48, off, s[28:31], 0 offset:20
	buffer_load_dword v49, off, s[28:31], 0 offset:24
	ds_read_b128 v[12:15], v138 offset:1008
	ds_read_b128 v[18:21], v138 offset:19152
	;; [unrolled: 1-line block ×3, first 2 shown]
	s_clause 0x7
	buffer_load_dword v54, off, s[28:31], 0 offset:60
	buffer_load_dword v55, off, s[28:31], 0 offset:64
	;; [unrolled: 1-line block ×8, first 2 shown]
	s_mov_b32 s0, 0x9c850ab
	s_mov_b32 s1, 0x3f434393
	s_mul_i32 s5, s9, 0x2370
	s_mul_hi_u32 s6, s8, 0x2370
	s_mul_i32 s4, s8, 0x2370
	s_add_i32 s5, s6, s5
	s_waitcnt vmcnt(9)
	v_mad_u64_u32 v[16:17], null, s10, v48, 0
	s_waitcnt vmcnt(4) lgkmcnt(5)
	v_mul_f64 v[34:35], v[56:57], v[2:3]
	v_mul_f64 v[36:37], v[56:57], v[0:1]
	s_clause 0x4
	buffer_load_dword v56, off, s[28:31], 0 offset:92
	buffer_load_dword v57, off, s[28:31], 0 offset:96
	;; [unrolled: 1-line block ×4, first 2 shown]
	buffer_load_dword v53, off, s[28:31], 0
	ds_read_b128 v[26:29], v138 offset:10080
	ds_read_b128 v[30:33], v138 offset:2016
	s_clause 0x3
	buffer_load_dword v69, off, s[28:31], 0 offset:44
	buffer_load_dword v70, off, s[28:31], 0 offset:48
	buffer_load_dword v71, off, s[28:31], 0 offset:52
	buffer_load_dword v72, off, s[28:31], 0 offset:56
	s_waitcnt vmcnt(9) lgkmcnt(6)
	v_mul_f64 v[38:39], v[62:63], v[6:7]
	v_mul_f64 v[40:41], v[62:63], v[4:5]
	s_waitcnt lgkmcnt(3)
	v_mad_u64_u32 v[48:49], null, s11, v48, v[17:18]
	v_mov_b32_e32 v17, v48
	v_fma_f64 v[34:35], v[54:55], v[0:1], v[34:35]
	v_fma_f64 v[36:37], v[54:55], v[2:3], -v[36:37]
	v_lshlrev_b64 v[16:17], 4, v[16:17]
	v_fma_f64 v[38:39], v[60:61], v[4:5], v[38:39]
	v_fma_f64 v[40:41], v[60:61], v[6:7], -v[40:41]
	ds_read_b128 v[0:3], v138 offset:11088
	ds_read_b128 v[4:7], v138 offset:3024
	s_waitcnt vmcnt(5)
	v_mul_f64 v[42:43], v[58:59], v[10:11]
	v_mul_f64 v[44:45], v[58:59], v[8:9]
	s_waitcnt vmcnt(4)
	v_mad_u64_u32 v[46:47], null, s8, v53, 0
	s_waitcnt vmcnt(0)
	v_mul_f64 v[49:50], v[71:72], v[14:15]
	v_mul_f64 v[51:52], v[71:72], v[12:13]
	s_clause 0x3
	buffer_load_dword v71, off, s[28:31], 0 offset:156
	buffer_load_dword v72, off, s[28:31], 0 offset:160
	buffer_load_dword v73, off, s[28:31], 0 offset:164
	buffer_load_dword v74, off, s[28:31], 0 offset:168
	v_fma_f64 v[42:43], v[56:57], v[8:9], v[42:43]
	v_fma_f64 v[44:45], v[56:57], v[10:11], -v[44:45]
	v_mad_u64_u32 v[8:9], null, s9, v53, v[47:48]
	v_fma_f64 v[48:49], v[69:70], v[12:13], v[49:50]
	v_fma_f64 v[50:51], v[69:70], v[14:15], -v[51:52]
	v_mul_f64 v[12:13], v[38:39], s[0:1]
	v_add_co_u32 v38, vcc_lo, s2, v16
	v_mul_f64 v[10:11], v[36:37], s[0:1]
	v_mov_b32_e32 v47, v8
	v_mul_f64 v[8:9], v[34:35], s[0:1]
	v_add_co_ci_u32_e32 v39, vcc_lo, s3, v17, vcc_lo
	v_mul_f64 v[14:15], v[40:41], s[0:1]
	v_lshlrev_b64 v[46:47], 4, v[46:47]
	s_mul_hi_u32 s2, s8, 0xffffbd10
	s_mul_i32 s3, s9, 0xffffbd10
	s_sub_i32 s2, s2, s8
	s_add_i32 s2, s2, s3
	v_add_co_u32 v38, vcc_lo, v38, v46
	v_mul_f64 v[34:35], v[42:43], s[0:1]
	v_mul_f64 v[36:37], v[44:45], s[0:1]
	v_add_co_ci_u32_e32 v39, vcc_lo, v39, v47, vcc_lo
	v_add_co_u32 v42, vcc_lo, v38, s4
	s_mul_i32 s3, s8, 0xffffbd10
	v_add_co_ci_u32_e32 v43, vcc_lo, s5, v39, vcc_lo
	v_add_co_u32 v46, vcc_lo, v42, s4
	v_add_co_ci_u32_e32 v47, vcc_lo, s5, v43, vcc_lo
	s_waitcnt vmcnt(0) lgkmcnt(3)
	v_mul_f64 v[53:54], v[73:74], v[28:29]
	v_mul_f64 v[55:56], v[73:74], v[26:27]
	s_clause 0x7
	buffer_load_dword v73, off, s[28:31], 0 offset:188
	buffer_load_dword v74, off, s[28:31], 0 offset:192
	;; [unrolled: 1-line block ×8, first 2 shown]
	v_fma_f64 v[44:45], v[71:72], v[26:27], v[53:54]
	v_fma_f64 v[52:53], v[71:72], v[28:29], -v[55:56]
	v_mul_f64 v[26:27], v[48:49], s[0:1]
	v_mul_f64 v[28:29], v[50:51], s[0:1]
	s_waitcnt vmcnt(4)
	v_mul_f64 v[57:58], v[75:76], v[20:21]
	s_waitcnt vmcnt(0) lgkmcnt(2)
	v_mul_f64 v[61:62], v[67:68], v[32:33]
	v_mul_f64 v[63:64], v[67:68], v[30:31]
	s_clause 0x3
	buffer_load_dword v67, off, s[28:31], 0 offset:172
	buffer_load_dword v68, off, s[28:31], 0 offset:176
	;; [unrolled: 1-line block ×4, first 2 shown]
	v_mul_f64 v[59:60], v[75:76], v[18:19]
	global_store_dwordx4 v[38:39], v[8:11], off
	global_store_dwordx4 v[42:43], v[12:15], off
	;; [unrolled: 1-line block ×3, first 2 shown]
	ds_read_b128 v[8:11], v138 offset:20160
	v_add_co_u32 v46, vcc_lo, v46, s3
	v_add_co_ci_u32_e32 v47, vcc_lo, s2, v47, vcc_lo
	v_fma_f64 v[34:35], v[73:74], v[18:19], v[57:58]
	v_fma_f64 v[36:37], v[65:66], v[30:31], v[61:62]
	v_fma_f64 v[38:39], v[65:66], v[32:33], -v[63:64]
	v_fma_f64 v[20:21], v[73:74], v[20:21], -v[59:60]
	v_mul_f64 v[30:31], v[34:35], s[0:1]
	v_mul_f64 v[34:35], v[36:37], s[0:1]
	;; [unrolled: 1-line block ×4, first 2 shown]
	s_waitcnt vmcnt(0) lgkmcnt(2)
	v_mul_f64 v[16:17], v[69:70], v[2:3]
	v_mul_f64 v[40:41], v[69:70], v[0:1]
	v_fma_f64 v[42:43], v[67:68], v[0:1], v[16:17]
	v_fma_f64 v[40:41], v[67:68], v[2:3], -v[40:41]
	ds_read_b128 v[12:15], v138 offset:12096
	ds_read_b128 v[16:19], v138 offset:21168
	s_clause 0x3
	buffer_load_dword v66, off, s[28:31], 0 offset:124
	buffer_load_dword v67, off, s[28:31], 0 offset:128
	buffer_load_dword v68, off, s[28:31], 0 offset:132
	buffer_load_dword v69, off, s[28:31], 0 offset:136
	v_mul_f64 v[0:1], v[44:45], s[0:1]
	s_clause 0x3
	buffer_load_dword v74, off, s[28:31], 0 offset:140
	buffer_load_dword v75, off, s[28:31], 0 offset:144
	;; [unrolled: 1-line block ×4, first 2 shown]
	v_mul_f64 v[2:3], v[52:53], s[0:1]
	v_add_co_u32 v52, vcc_lo, v46, s4
	v_add_co_ci_u32_e32 v53, vcc_lo, s5, v47, vcc_lo
	v_add_co_u32 v54, vcc_lo, v52, s4
	v_add_co_ci_u32_e32 v55, vcc_lo, s5, v53, vcc_lo
	v_mul_f64 v[38:39], v[42:43], s[0:1]
	ds_read_b128 v[42:45], v138 offset:13104
	s_clause 0x3
	buffer_load_dword v70, off, s[28:31], 0 offset:108
	buffer_load_dword v71, off, s[28:31], 0 offset:112
	;; [unrolled: 1-line block ×4, first 2 shown]
	v_mul_f64 v[40:41], v[40:41], s[0:1]
	s_waitcnt vmcnt(8) lgkmcnt(3)
	v_mul_f64 v[48:49], v[68:69], v[10:11]
	v_mul_f64 v[50:51], v[68:69], v[8:9]
	s_waitcnt vmcnt(4)
	v_mul_f64 v[20:21], v[76:77], v[6:7]
	v_mul_f64 v[56:57], v[76:77], v[4:5]
	s_clause 0x3
	buffer_load_dword v76, off, s[28:31], 0 offset:444
	buffer_load_dword v77, off, s[28:31], 0 offset:448
	;; [unrolled: 1-line block ×4, first 2 shown]
	s_waitcnt vmcnt(4) lgkmcnt(2)
	v_mul_f64 v[58:59], v[72:73], v[14:15]
	v_mul_f64 v[60:61], v[72:73], v[12:13]
	v_fma_f64 v[48:49], v[66:67], v[8:9], v[48:49]
	v_fma_f64 v[50:51], v[66:67], v[10:11], -v[50:51]
	v_add_co_u32 v66, vcc_lo, v54, s3
	v_add_co_ci_u32_e32 v67, vcc_lo, s2, v55, vcc_lo
	ds_read_b128 v[8:11], v138 offset:4032
	v_add_co_u32 v68, vcc_lo, v66, s4
	v_add_co_ci_u32_e32 v69, vcc_lo, s5, v67, vcc_lo
	global_store_dwordx4 v[46:47], v[26:29], off
	global_store_dwordx4 v[52:53], v[0:3], off
	;; [unrolled: 1-line block ×5, first 2 shown]
	ds_read_b128 v[0:3], v138 offset:5040
	v_fma_f64 v[56:57], v[74:75], v[6:7], -v[56:57]
	v_fma_f64 v[20:21], v[74:75], v[4:5], v[20:21]
	v_add_co_u32 v46, vcc_lo, v68, s4
	v_add_co_ci_u32_e32 v47, vcc_lo, s5, v69, vcc_lo
	v_fma_f64 v[30:31], v[70:71], v[12:13], v[58:59]
	v_fma_f64 v[32:33], v[70:71], v[14:15], -v[60:61]
	s_clause 0x3
	buffer_load_dword v58, off, s[28:31], 0 offset:76
	buffer_load_dword v59, off, s[28:31], 0 offset:80
	;; [unrolled: 1-line block ×4, first 2 shown]
	ds_read_b128 v[12:15], v138 offset:22176
	ds_read_b128 v[26:29], v138 offset:14112
	s_clause 0x3
	buffer_load_dword v80, off, s[28:31], 0 offset:428
	buffer_load_dword v81, off, s[28:31], 0 offset:432
	;; [unrolled: 1-line block ×4, first 2 shown]
	v_mul_f64 v[4:5], v[48:49], s[0:1]
	v_mul_f64 v[6:7], v[50:51], s[0:1]
	v_add_co_u32 v50, vcc_lo, v46, s3
	v_add_co_ci_u32_e32 v51, vcc_lo, s2, v47, vcc_lo
	v_add_co_u32 v68, vcc_lo, v50, s4
	v_add_co_ci_u32_e32 v69, vcc_lo, s5, v51, vcc_lo
	v_mul_f64 v[30:31], v[30:31], s[0:1]
	v_mul_f64 v[32:33], v[32:33], s[0:1]
	s_waitcnt vmcnt(8) lgkmcnt(5)
	v_mul_f64 v[62:63], v[78:79], v[18:19]
	v_mul_f64 v[64:65], v[78:79], v[16:17]
	v_fma_f64 v[34:35], v[76:77], v[16:17], v[62:63]
	v_fma_f64 v[36:37], v[76:77], v[18:19], -v[64:65]
	v_mul_f64 v[18:19], v[56:57], s[0:1]
	v_mul_f64 v[16:17], v[20:21], s[0:1]
	s_waitcnt vmcnt(4) lgkmcnt(3)
	v_mul_f64 v[38:39], v[60:61], v[10:11]
	v_mul_f64 v[40:41], v[60:61], v[8:9]
	s_waitcnt vmcnt(0)
	v_mul_f64 v[20:21], v[82:83], v[44:45]
	v_mul_f64 v[48:49], v[82:83], v[42:43]
	;; [unrolled: 1-line block ×4, first 2 shown]
	v_fma_f64 v[52:53], v[58:59], v[8:9], v[38:39]
	v_fma_f64 v[54:55], v[58:59], v[10:11], -v[40:41]
	ds_read_b128 v[8:11], v138 offset:23184
	s_clause 0x7
	buffer_load_dword v70, off, s[28:31], 0 offset:364
	buffer_load_dword v71, off, s[28:31], 0 offset:368
	;; [unrolled: 1-line block ×8, first 2 shown]
	ds_read_b128 v[38:41], v138 offset:15120
	v_fma_f64 v[20:21], v[80:81], v[42:43], v[20:21]
	v_fma_f64 v[42:43], v[80:81], v[44:45], -v[48:49]
	v_add_co_u32 v44, vcc_lo, v68, s4
	v_add_co_ci_u32_e32 v45, vcc_lo, s5, v69, vcc_lo
	s_waitcnt vmcnt(4) lgkmcnt(3)
	v_mul_f64 v[56:57], v[72:73], v[14:15]
	v_mul_f64 v[58:59], v[72:73], v[12:13]
	s_clause 0x3
	buffer_load_dword v72, off, s[28:31], 0 offset:396
	buffer_load_dword v73, off, s[28:31], 0 offset:400
	;; [unrolled: 1-line block ×4, first 2 shown]
	s_waitcnt vmcnt(4)
	v_mul_f64 v[60:61], v[78:79], v[2:3]
	v_mul_f64 v[62:63], v[78:79], v[0:1]
	global_store_dwordx4 v[46:47], v[4:7], off
	global_store_dwordx4 v[50:51], v[16:19], off
	ds_read_b128 v[4:7], v138 offset:6048
	global_store_dwordx4 v[68:69], v[30:33], off
	global_store_dwordx4 v[44:45], v[34:37], off
	v_mul_f64 v[16:17], v[52:53], s[0:1]
	v_add_co_u32 v52, vcc_lo, v44, s3
	v_mul_f64 v[18:19], v[54:55], s[0:1]
	v_add_co_ci_u32_e32 v53, vcc_lo, s2, v45, vcc_lo
	v_fma_f64 v[30:31], v[70:71], v[12:13], v[56:57]
	v_fma_f64 v[32:33], v[70:71], v[14:15], -v[58:59]
	v_add_co_u32 v58, vcc_lo, v52, s4
	v_fma_f64 v[34:35], v[76:77], v[0:1], v[60:61]
	v_fma_f64 v[36:37], v[76:77], v[2:3], -v[62:63]
	v_mul_f64 v[0:1], v[20:21], s[0:1]
	v_mul_f64 v[2:3], v[42:43], s[0:1]
	v_add_co_ci_u32_e32 v59, vcc_lo, s5, v53, vcc_lo
	s_waitcnt vmcnt(0) lgkmcnt(3)
	v_mul_f64 v[64:65], v[74:75], v[28:29]
	v_mul_f64 v[66:67], v[74:75], v[26:27]
	v_fma_f64 v[46:47], v[72:73], v[26:27], v[64:65]
	v_fma_f64 v[48:49], v[72:73], v[28:29], -v[66:67]
	s_clause 0x3
	buffer_load_dword v64, off, s[28:31], 0 offset:380
	buffer_load_dword v65, off, s[28:31], 0 offset:384
	buffer_load_dword v66, off, s[28:31], 0 offset:388
	buffer_load_dword v67, off, s[28:31], 0 offset:392
	ds_read_b128 v[12:15], v138 offset:7056
	s_clause 0x3
	buffer_load_dword v60, off, s[28:31], 0 offset:348
	buffer_load_dword v61, off, s[28:31], 0 offset:352
	;; [unrolled: 1-line block ×4, first 2 shown]
	ds_read_b128 v[42:45], v138 offset:24192
	v_mul_f64 v[26:27], v[30:31], s[0:1]
	v_mul_f64 v[28:29], v[32:33], s[0:1]
	;; [unrolled: 1-line block ×6, first 2 shown]
	v_add_co_u32 v46, vcc_lo, v58, s4
	v_add_co_ci_u32_e32 v47, vcc_lo, s5, v59, vcc_lo
	v_add_co_u32 v48, vcc_lo, v46, s3
	v_add_co_ci_u32_e32 v49, vcc_lo, s2, v47, vcc_lo
	s_waitcnt vmcnt(4) lgkmcnt(4)
	v_mul_f64 v[50:51], v[66:67], v[10:11]
	v_mul_f64 v[54:55], v[66:67], v[8:9]
	s_waitcnt vmcnt(0) lgkmcnt(2)
	v_mul_f64 v[20:21], v[62:63], v[6:7]
	v_mul_f64 v[56:57], v[62:63], v[4:5]
	s_clause 0x3
	buffer_load_dword v66, off, s[28:31], 0 offset:332
	buffer_load_dword v67, off, s[28:31], 0 offset:336
	;; [unrolled: 1-line block ×4, first 2 shown]
	v_fma_f64 v[8:9], v[64:65], v[8:9], v[50:51]
	v_fma_f64 v[10:11], v[64:65], v[10:11], -v[54:55]
	v_fma_f64 v[20:21], v[60:61], v[4:5], v[20:21]
	v_fma_f64 v[50:51], v[60:61], v[6:7], -v[56:57]
	v_add_co_u32 v60, vcc_lo, v48, s4
	v_add_co_ci_u32_e32 v61, vcc_lo, s5, v49, vcc_lo
	global_store_dwordx4 v[52:53], v[16:19], off
	global_store_dwordx4 v[58:59], v[0:3], off
	global_store_dwordx4 v[46:47], v[26:29], off
	global_store_dwordx4 v[48:49], v[30:33], off
	global_store_dwordx4 v[60:61], v[34:37], off
	ds_read_b128 v[0:3], v138 offset:25200
	s_clause 0x3
	buffer_load_dword v62, off, s[28:31], 0 offset:316
	buffer_load_dword v63, off, s[28:31], 0 offset:320
	;; [unrolled: 1-line block ×4, first 2 shown]
	ds_read_b128 v[4:7], v138 offset:16128
	ds_read_b128 v[16:19], v138 offset:17136
	;; [unrolled: 1-line block ×3, first 2 shown]
	s_clause 0x3
	buffer_load_dword v72, off, s[28:31], 0 offset:220
	buffer_load_dword v73, off, s[28:31], 0 offset:224
	buffer_load_dword v74, off, s[28:31], 0 offset:228
	buffer_load_dword v75, off, s[28:31], 0 offset:232
	v_add_co_u32 v46, vcc_lo, v60, s4
	v_add_co_ci_u32_e32 v47, vcc_lo, s5, v61, vcc_lo
	v_mul_f64 v[8:9], v[8:9], s[0:1]
	v_mul_f64 v[10:11], v[10:11], s[0:1]
	;; [unrolled: 1-line block ×4, first 2 shown]
	v_add_co_u32 v50, vcc_lo, v46, s3
	v_add_co_ci_u32_e32 v51, vcc_lo, s2, v47, vcc_lo
	s_waitcnt vmcnt(8)
	v_mul_f64 v[54:55], v[68:69], v[40:41]
	v_mul_f64 v[56:57], v[68:69], v[38:39]
	s_clause 0x3
	buffer_load_dword v68, off, s[28:31], 0 offset:204
	buffer_load_dword v69, off, s[28:31], 0 offset:208
	;; [unrolled: 1-line block ×4, first 2 shown]
	v_fma_f64 v[20:21], v[66:67], v[38:39], v[54:55]
	v_fma_f64 v[38:39], v[66:67], v[40:41], -v[56:57]
	s_waitcnt vmcnt(8) lgkmcnt(4)
	v_mul_f64 v[34:35], v[64:65], v[44:45]
	v_mul_f64 v[36:37], v[64:65], v[42:43]
	s_waitcnt vmcnt(4)
	v_mul_f64 v[40:41], v[74:75], v[14:15]
	v_mul_f64 v[48:49], v[74:75], v[12:13]
	s_clause 0x7
	buffer_load_dword v74, off, s[28:31], 0 offset:252
	buffer_load_dword v75, off, s[28:31], 0 offset:256
	;; [unrolled: 1-line block ×8, first 2 shown]
	v_fma_f64 v[34:35], v[62:63], v[42:43], v[34:35]
	v_fma_f64 v[36:37], v[62:63], v[44:45], -v[36:37]
	v_fma_f64 v[12:13], v[72:73], v[12:13], v[40:41]
	v_fma_f64 v[14:15], v[72:73], v[14:15], -v[48:49]
	s_waitcnt vmcnt(8) lgkmcnt(2)
	v_mul_f64 v[52:53], v[70:71], v[6:7]
	v_mul_f64 v[54:55], v[70:71], v[4:5]
	s_waitcnt vmcnt(4)
	v_mul_f64 v[42:43], v[76:77], v[2:3]
	s_waitcnt vmcnt(0)
	v_mul_f64 v[56:57], v[82:83], v[24:25]
	v_mul_f64 v[58:59], v[82:83], v[22:23]
	s_clause 0x3
	buffer_load_dword v82, off, s[28:31], 0 offset:300
	buffer_load_dword v83, off, s[28:31], 0 offset:304
	;; [unrolled: 1-line block ×4, first 2 shown]
	v_mul_f64 v[44:45], v[76:77], v[0:1]
	s_clause 0x3
	buffer_load_dword v76, off, s[28:31], 0 offset:268
	buffer_load_dword v77, off, s[28:31], 0 offset:272
	;; [unrolled: 1-line block ×4, first 2 shown]
	global_store_dwordx4 v[46:47], v[8:11], off
	global_store_dwordx4 v[50:51], v[26:29], off
	v_mul_f64 v[8:9], v[20:21], s[0:1]
	v_fma_f64 v[20:21], v[68:69], v[4:5], v[52:53]
	v_fma_f64 v[26:27], v[68:69], v[6:7], -v[54:55]
	v_mul_f64 v[4:5], v[34:35], s[0:1]
	v_mul_f64 v[6:7], v[36:37], s[0:1]
	;; [unrolled: 1-line block ×3, first 2 shown]
	v_add_co_u32 v38, vcc_lo, v50, s4
	v_add_co_ci_u32_e32 v39, vcc_lo, s5, v51, vcc_lo
	v_fma_f64 v[28:29], v[74:75], v[0:1], v[42:43]
	v_fma_f64 v[22:23], v[80:81], v[22:23], v[56:57]
	v_fma_f64 v[24:25], v[80:81], v[24:25], -v[58:59]
	v_add_co_u32 v42, vcc_lo, v38, s4
	v_fma_f64 v[34:35], v[74:75], v[2:3], -v[44:45]
	v_add_co_ci_u32_e32 v43, vcc_lo, s5, v39, vcc_lo
	v_add_co_u32 v44, vcc_lo, v42, s3
	v_mul_f64 v[0:1], v[12:13], s[0:1]
	v_add_co_ci_u32_e32 v45, vcc_lo, s2, v43, vcc_lo
	v_mul_f64 v[2:3], v[14:15], s[0:1]
	v_add_co_u32 v46, vcc_lo, v44, s4
	v_mul_f64 v[12:13], v[20:21], s[0:1]
	v_mul_f64 v[14:15], v[26:27], s[0:1]
	v_add_co_ci_u32_e32 v47, vcc_lo, s5, v45, vcc_lo
	global_store_dwordx4 v[38:39], v[8:11], off
	global_store_dwordx4 v[42:43], v[4:7], off
	v_mul_f64 v[20:21], v[22:23], s[0:1]
	v_mul_f64 v[22:23], v[24:25], s[0:1]
	global_store_dwordx4 v[44:45], v[0:3], off
	s_waitcnt vmcnt(4) lgkmcnt(1)
	v_mul_f64 v[60:61], v[84:85], v[18:19]
	v_mul_f64 v[62:63], v[84:85], v[16:17]
	s_waitcnt vmcnt(0) lgkmcnt(0)
	v_mul_f64 v[64:65], v[78:79], v[32:33]
	v_mul_f64 v[66:67], v[78:79], v[30:31]
	v_fma_f64 v[36:37], v[82:83], v[16:17], v[60:61]
	v_fma_f64 v[40:41], v[82:83], v[18:19], -v[62:63]
	v_fma_f64 v[30:31], v[76:77], v[30:31], v[64:65]
	v_fma_f64 v[32:33], v[76:77], v[32:33], -v[66:67]
	v_mul_f64 v[16:17], v[28:29], s[0:1]
	v_mul_f64 v[18:19], v[34:35], s[0:1]
	;; [unrolled: 1-line block ×6, first 2 shown]
	v_add_co_u32 v32, vcc_lo, v46, s4
	v_add_co_ci_u32_e32 v33, vcc_lo, s5, v47, vcc_lo
	v_add_co_u32 v8, vcc_lo, v32, s3
	v_add_co_ci_u32_e32 v9, vcc_lo, s2, v33, vcc_lo
	;; [unrolled: 2-line block ×4, first 2 shown]
	global_store_dwordx4 v[46:47], v[12:15], off
	global_store_dwordx4 v[32:33], v[16:19], off
	global_store_dwordx4 v[8:9], v[20:23], off
	global_store_dwordx4 v[4:5], v[24:27], off
	global_store_dwordx4 v[0:1], v[28:31], off
.LBB0_10:
	s_endpgm
	.section	.rodata,"a",@progbits
	.p2align	6, 0x0
	.amdhsa_kernel bluestein_single_back_len1701_dim1_dp_op_CI_CI
		.amdhsa_group_segment_fixed_size 27216
		.amdhsa_private_segment_fixed_size 1788
		.amdhsa_kernarg_size 104
		.amdhsa_user_sgpr_count 6
		.amdhsa_user_sgpr_private_segment_buffer 1
		.amdhsa_user_sgpr_dispatch_ptr 0
		.amdhsa_user_sgpr_queue_ptr 0
		.amdhsa_user_sgpr_kernarg_segment_ptr 1
		.amdhsa_user_sgpr_dispatch_id 0
		.amdhsa_user_sgpr_flat_scratch_init 0
		.amdhsa_user_sgpr_private_segment_size 0
		.amdhsa_wavefront_size32 1
		.amdhsa_uses_dynamic_stack 0
		.amdhsa_system_sgpr_private_segment_wavefront_offset 1
		.amdhsa_system_sgpr_workgroup_id_x 1
		.amdhsa_system_sgpr_workgroup_id_y 0
		.amdhsa_system_sgpr_workgroup_id_z 0
		.amdhsa_system_sgpr_workgroup_info 0
		.amdhsa_system_vgpr_workitem_id 0
		.amdhsa_next_free_vgpr 256
		.amdhsa_next_free_sgpr 32
		.amdhsa_reserve_vcc 1
		.amdhsa_reserve_flat_scratch 0
		.amdhsa_float_round_mode_32 0
		.amdhsa_float_round_mode_16_64 0
		.amdhsa_float_denorm_mode_32 3
		.amdhsa_float_denorm_mode_16_64 3
		.amdhsa_dx10_clamp 1
		.amdhsa_ieee_mode 1
		.amdhsa_fp16_overflow 0
		.amdhsa_workgroup_processor_mode 1
		.amdhsa_memory_ordered 1
		.amdhsa_forward_progress 0
		.amdhsa_shared_vgpr_count 0
		.amdhsa_exception_fp_ieee_invalid_op 0
		.amdhsa_exception_fp_denorm_src 0
		.amdhsa_exception_fp_ieee_div_zero 0
		.amdhsa_exception_fp_ieee_overflow 0
		.amdhsa_exception_fp_ieee_underflow 0
		.amdhsa_exception_fp_ieee_inexact 0
		.amdhsa_exception_int_div_zero 0
	.end_amdhsa_kernel
	.text
.Lfunc_end0:
	.size	bluestein_single_back_len1701_dim1_dp_op_CI_CI, .Lfunc_end0-bluestein_single_back_len1701_dim1_dp_op_CI_CI
                                        ; -- End function
	.section	.AMDGPU.csdata,"",@progbits
; Kernel info:
; codeLenInByte = 46768
; NumSgprs: 34
; NumVgprs: 256
; ScratchSize: 1788
; MemoryBound: 0
; FloatMode: 240
; IeeeMode: 1
; LDSByteSize: 27216 bytes/workgroup (compile time only)
; SGPRBlocks: 4
; VGPRBlocks: 31
; NumSGPRsForWavesPerEU: 34
; NumVGPRsForWavesPerEU: 256
; Occupancy: 2
; WaveLimiterHint : 1
; COMPUTE_PGM_RSRC2:SCRATCH_EN: 1
; COMPUTE_PGM_RSRC2:USER_SGPR: 6
; COMPUTE_PGM_RSRC2:TRAP_HANDLER: 0
; COMPUTE_PGM_RSRC2:TGID_X_EN: 1
; COMPUTE_PGM_RSRC2:TGID_Y_EN: 0
; COMPUTE_PGM_RSRC2:TGID_Z_EN: 0
; COMPUTE_PGM_RSRC2:TIDIG_COMP_CNT: 0
	.text
	.p2alignl 6, 3214868480
	.fill 48, 4, 3214868480
	.type	__hip_cuid_ff7e02234cf54dc4,@object ; @__hip_cuid_ff7e02234cf54dc4
	.section	.bss,"aw",@nobits
	.globl	__hip_cuid_ff7e02234cf54dc4
__hip_cuid_ff7e02234cf54dc4:
	.byte	0                               ; 0x0
	.size	__hip_cuid_ff7e02234cf54dc4, 1

	.ident	"AMD clang version 19.0.0git (https://github.com/RadeonOpenCompute/llvm-project roc-6.4.0 25133 c7fe45cf4b819c5991fe208aaa96edf142730f1d)"
	.section	".note.GNU-stack","",@progbits
	.addrsig
	.addrsig_sym __hip_cuid_ff7e02234cf54dc4
	.amdgpu_metadata
---
amdhsa.kernels:
  - .args:
      - .actual_access:  read_only
        .address_space:  global
        .offset:         0
        .size:           8
        .value_kind:     global_buffer
      - .actual_access:  read_only
        .address_space:  global
        .offset:         8
        .size:           8
        .value_kind:     global_buffer
      - .actual_access:  read_only
        .address_space:  global
        .offset:         16
        .size:           8
        .value_kind:     global_buffer
      - .actual_access:  read_only
        .address_space:  global
        .offset:         24
        .size:           8
        .value_kind:     global_buffer
      - .actual_access:  read_only
        .address_space:  global
        .offset:         32
        .size:           8
        .value_kind:     global_buffer
      - .offset:         40
        .size:           8
        .value_kind:     by_value
      - .address_space:  global
        .offset:         48
        .size:           8
        .value_kind:     global_buffer
      - .address_space:  global
        .offset:         56
        .size:           8
        .value_kind:     global_buffer
      - .address_space:  global
        .offset:         64
        .size:           8
        .value_kind:     global_buffer
      - .address_space:  global
        .offset:         72
        .size:           8
        .value_kind:     global_buffer
      - .offset:         80
        .size:           4
        .value_kind:     by_value
      - .address_space:  global
        .offset:         88
        .size:           8
        .value_kind:     global_buffer
      - .address_space:  global
        .offset:         96
        .size:           8
        .value_kind:     global_buffer
    .group_segment_fixed_size: 27216
    .kernarg_segment_align: 8
    .kernarg_segment_size: 104
    .language:       OpenCL C
    .language_version:
      - 2
      - 0
    .max_flat_workgroup_size: 63
    .name:           bluestein_single_back_len1701_dim1_dp_op_CI_CI
    .private_segment_fixed_size: 1788
    .sgpr_count:     34
    .sgpr_spill_count: 0
    .symbol:         bluestein_single_back_len1701_dim1_dp_op_CI_CI.kd
    .uniform_work_group_size: 1
    .uses_dynamic_stack: false
    .vgpr_count:     256
    .vgpr_spill_count: 450
    .wavefront_size: 32
    .workgroup_processor_mode: 1
amdhsa.target:   amdgcn-amd-amdhsa--gfx1030
amdhsa.version:
  - 1
  - 2
...

	.end_amdgpu_metadata
